;; amdgpu-corpus repo=ROCm/rocSPARSE kind=compiled arch=gfx906 opt=O3
	.amdgcn_target "amdgcn-amd-amdhsa--gfx906"
	.amdhsa_code_object_version 6
	.section	.text._ZN9rocsparseL20extract_count_kernelILj1024EiiEEvT1_PKT0_PKS1_21rocsparse_index_base_b20rocsparse_diag_type_PS2_,"axG",@progbits,_ZN9rocsparseL20extract_count_kernelILj1024EiiEEvT1_PKT0_PKS1_21rocsparse_index_base_b20rocsparse_diag_type_PS2_,comdat
	.globl	_ZN9rocsparseL20extract_count_kernelILj1024EiiEEvT1_PKT0_PKS1_21rocsparse_index_base_b20rocsparse_diag_type_PS2_ ; -- Begin function _ZN9rocsparseL20extract_count_kernelILj1024EiiEEvT1_PKT0_PKS1_21rocsparse_index_base_b20rocsparse_diag_type_PS2_
	.p2align	8
	.type	_ZN9rocsparseL20extract_count_kernelILj1024EiiEEvT1_PKT0_PKS1_21rocsparse_index_base_b20rocsparse_diag_type_PS2_,@function
_ZN9rocsparseL20extract_count_kernelILj1024EiiEEvT1_PKT0_PKS1_21rocsparse_index_base_b20rocsparse_diag_type_PS2_: ; @_ZN9rocsparseL20extract_count_kernelILj1024EiiEEvT1_PKT0_PKS1_21rocsparse_index_base_b20rocsparse_diag_type_PS2_
; %bb.0:
	s_load_dword s0, s[4:5], 0x3c
	s_load_dword s1, s[4:5], 0x0
	s_waitcnt lgkmcnt(0)
	s_and_b32 s0, s0, 0xffff
	s_mul_i32 s6, s6, s0
	v_add_u32_e32 v0, s6, v0
	v_cmp_gt_i32_e32 vcc, s1, v0
	s_and_saveexec_b64 s[0:1], vcc
	s_cbranch_execz .LBB0_17
; %bb.1:
	s_load_dwordx2 s[0:1], s[4:5], 0x8
	s_load_dwordx2 s[6:7], s[4:5], 0x28
	v_ashrrev_i32_e32 v1, 31, v0
	v_lshlrev_b64 v[1:2], 2, v[0:1]
	v_mov_b32_e32 v7, 0
	s_waitcnt lgkmcnt(0)
	v_mov_b32_e32 v4, s1
	v_add_co_u32_e32 v3, vcc, s0, v1
	v_addc_co_u32_e32 v4, vcc, v4, v2, vcc
	global_load_dwordx2 v[3:4], v[3:4], off
	s_waitcnt vmcnt(0)
	v_cmp_lt_i32_e32 vcc, v3, v4
	s_and_saveexec_b64 s[8:9], vcc
	s_cbranch_execz .LBB0_16
; %bb.2:
	s_load_dwordx4 s[0:3], s[4:5], 0x18
	s_load_dwordx2 s[10:11], s[4:5], 0x10
	s_waitcnt lgkmcnt(0)
	v_subrev_u32_e32 v3, s0, v3
	v_subrev_u32_e32 v6, s0, v4
	s_bitcmp1_b32 s1, 0
	v_ashrrev_i32_e32 v4, 31, v3
	s_cselect_b64 s[4:5], -1, 0
	v_lshlrev_b64 v[4:5], 2, v[3:4]
	s_xor_b64 s[4:5], s[4:5], -1
	s_cmp_lg_u32 s2, 1
	v_mov_b32_e32 v7, s11
	v_add_co_u32_e32 v4, vcc, s10, v4
	s_cselect_b64 s[2:3], -1, 0
	v_addc_co_u32_e32 v5, vcc, v7, v5, vcc
	v_mov_b32_e32 v7, 0
	s_mov_b64 s[10:11], 0
	s_branch .LBB0_4
.LBB0_3:                                ;   in Loop: Header=BB0_4 Depth=1
	v_add_u32_e32 v3, 1, v3
	v_cmp_ge_i32_e32 vcc, v3, v6
	v_cndmask_b32_e64 v8, 0, 1, s[12:13]
	s_or_b64 s[10:11], vcc, s[10:11]
	v_add_co_u32_e32 v4, vcc, 4, v4
	v_add_u32_e32 v7, v7, v8
	v_addc_co_u32_e32 v5, vcc, 0, v5, vcc
	s_andn2_b64 exec, exec, s[10:11]
	s_cbranch_execz .LBB0_15
.LBB0_4:                                ; =>This Inner Loop Header: Depth=1
	global_load_dword v8, v[4:5], off
	s_and_b64 vcc, exec, s[4:5]
	s_mov_b64 s[14:15], -1
                                        ; implicit-def: $sgpr12_sgpr13
	s_waitcnt vmcnt(0)
	v_subrev_u32_e32 v8, s0, v8
	s_cbranch_vccz .LBB0_10
; %bb.5:                                ;   in Loop: Header=BB0_4 Depth=1
	s_and_b64 vcc, exec, s[2:3]
                                        ; implicit-def: $sgpr12_sgpr13
	s_cbranch_vccz .LBB0_7
; %bb.6:                                ;   in Loop: Header=BB0_4 Depth=1
	v_cmp_le_i32_e64 s[12:13], v0, v8
	s_mov_b64 s[14:15], 0
.LBB0_7:                                ;   in Loop: Header=BB0_4 Depth=1
	s_andn2_b64 vcc, exec, s[14:15]
	s_cbranch_vccnz .LBB0_9
; %bb.8:                                ;   in Loop: Header=BB0_4 Depth=1
	v_cmp_lt_i32_e32 vcc, v0, v8
	s_andn2_b64 s[12:13], s[12:13], exec
	s_and_b64 s[14:15], vcc, exec
	s_or_b64 s[12:13], s[12:13], s[14:15]
.LBB0_9:                                ;   in Loop: Header=BB0_4 Depth=1
	s_mov_b64 s[14:15], 0
.LBB0_10:                               ;   in Loop: Header=BB0_4 Depth=1
	s_andn2_b64 vcc, exec, s[14:15]
	s_cbranch_vccnz .LBB0_3
; %bb.11:                               ;   in Loop: Header=BB0_4 Depth=1
	s_mov_b64 s[14:15], -1
	s_and_b64 vcc, exec, s[2:3]
                                        ; implicit-def: $sgpr12_sgpr13
	s_cbranch_vccz .LBB0_13
; %bb.12:                               ;   in Loop: Header=BB0_4 Depth=1
	v_cmp_ge_i32_e64 s[12:13], v0, v8
	s_mov_b64 s[14:15], 0
.LBB0_13:                               ;   in Loop: Header=BB0_4 Depth=1
	s_andn2_b64 vcc, exec, s[14:15]
	s_cbranch_vccnz .LBB0_3
; %bb.14:                               ;   in Loop: Header=BB0_4 Depth=1
	v_cmp_gt_i32_e32 vcc, v0, v8
	s_andn2_b64 s[12:13], s[12:13], exec
	s_and_b64 s[14:15], vcc, exec
	s_or_b64 s[12:13], s[12:13], s[14:15]
	s_branch .LBB0_3
.LBB0_15:
	s_or_b64 exec, exec, s[10:11]
.LBB0_16:
	s_or_b64 exec, exec, s[8:9]
	v_mov_b32_e32 v3, s7
	v_add_co_u32_e32 v0, vcc, s6, v1
	v_addc_co_u32_e32 v1, vcc, v3, v2, vcc
	global_store_dword v[0:1], v7, off offset:4
.LBB0_17:
	s_endpgm
	.section	.rodata,"a",@progbits
	.p2align	6, 0x0
	.amdhsa_kernel _ZN9rocsparseL20extract_count_kernelILj1024EiiEEvT1_PKT0_PKS1_21rocsparse_index_base_b20rocsparse_diag_type_PS2_
		.amdhsa_group_segment_fixed_size 0
		.amdhsa_private_segment_fixed_size 0
		.amdhsa_kernarg_size 304
		.amdhsa_user_sgpr_count 6
		.amdhsa_user_sgpr_private_segment_buffer 1
		.amdhsa_user_sgpr_dispatch_ptr 0
		.amdhsa_user_sgpr_queue_ptr 0
		.amdhsa_user_sgpr_kernarg_segment_ptr 1
		.amdhsa_user_sgpr_dispatch_id 0
		.amdhsa_user_sgpr_flat_scratch_init 0
		.amdhsa_user_sgpr_private_segment_size 0
		.amdhsa_uses_dynamic_stack 0
		.amdhsa_system_sgpr_private_segment_wavefront_offset 0
		.amdhsa_system_sgpr_workgroup_id_x 1
		.amdhsa_system_sgpr_workgroup_id_y 0
		.amdhsa_system_sgpr_workgroup_id_z 0
		.amdhsa_system_sgpr_workgroup_info 0
		.amdhsa_system_vgpr_workitem_id 0
		.amdhsa_next_free_vgpr 9
		.amdhsa_next_free_sgpr 16
		.amdhsa_reserve_vcc 1
		.amdhsa_reserve_flat_scratch 0
		.amdhsa_float_round_mode_32 0
		.amdhsa_float_round_mode_16_64 0
		.amdhsa_float_denorm_mode_32 3
		.amdhsa_float_denorm_mode_16_64 3
		.amdhsa_dx10_clamp 1
		.amdhsa_ieee_mode 1
		.amdhsa_fp16_overflow 0
		.amdhsa_exception_fp_ieee_invalid_op 0
		.amdhsa_exception_fp_denorm_src 0
		.amdhsa_exception_fp_ieee_div_zero 0
		.amdhsa_exception_fp_ieee_overflow 0
		.amdhsa_exception_fp_ieee_underflow 0
		.amdhsa_exception_fp_ieee_inexact 0
		.amdhsa_exception_int_div_zero 0
	.end_amdhsa_kernel
	.section	.text._ZN9rocsparseL20extract_count_kernelILj1024EiiEEvT1_PKT0_PKS1_21rocsparse_index_base_b20rocsparse_diag_type_PS2_,"axG",@progbits,_ZN9rocsparseL20extract_count_kernelILj1024EiiEEvT1_PKT0_PKS1_21rocsparse_index_base_b20rocsparse_diag_type_PS2_,comdat
.Lfunc_end0:
	.size	_ZN9rocsparseL20extract_count_kernelILj1024EiiEEvT1_PKT0_PKS1_21rocsparse_index_base_b20rocsparse_diag_type_PS2_, .Lfunc_end0-_ZN9rocsparseL20extract_count_kernelILj1024EiiEEvT1_PKT0_PKS1_21rocsparse_index_base_b20rocsparse_diag_type_PS2_
                                        ; -- End function
	.set _ZN9rocsparseL20extract_count_kernelILj1024EiiEEvT1_PKT0_PKS1_21rocsparse_index_base_b20rocsparse_diag_type_PS2_.num_vgpr, 9
	.set _ZN9rocsparseL20extract_count_kernelILj1024EiiEEvT1_PKT0_PKS1_21rocsparse_index_base_b20rocsparse_diag_type_PS2_.num_agpr, 0
	.set _ZN9rocsparseL20extract_count_kernelILj1024EiiEEvT1_PKT0_PKS1_21rocsparse_index_base_b20rocsparse_diag_type_PS2_.numbered_sgpr, 16
	.set _ZN9rocsparseL20extract_count_kernelILj1024EiiEEvT1_PKT0_PKS1_21rocsparse_index_base_b20rocsparse_diag_type_PS2_.num_named_barrier, 0
	.set _ZN9rocsparseL20extract_count_kernelILj1024EiiEEvT1_PKT0_PKS1_21rocsparse_index_base_b20rocsparse_diag_type_PS2_.private_seg_size, 0
	.set _ZN9rocsparseL20extract_count_kernelILj1024EiiEEvT1_PKT0_PKS1_21rocsparse_index_base_b20rocsparse_diag_type_PS2_.uses_vcc, 1
	.set _ZN9rocsparseL20extract_count_kernelILj1024EiiEEvT1_PKT0_PKS1_21rocsparse_index_base_b20rocsparse_diag_type_PS2_.uses_flat_scratch, 0
	.set _ZN9rocsparseL20extract_count_kernelILj1024EiiEEvT1_PKT0_PKS1_21rocsparse_index_base_b20rocsparse_diag_type_PS2_.has_dyn_sized_stack, 0
	.set _ZN9rocsparseL20extract_count_kernelILj1024EiiEEvT1_PKT0_PKS1_21rocsparse_index_base_b20rocsparse_diag_type_PS2_.has_recursion, 0
	.set _ZN9rocsparseL20extract_count_kernelILj1024EiiEEvT1_PKT0_PKS1_21rocsparse_index_base_b20rocsparse_diag_type_PS2_.has_indirect_call, 0
	.section	.AMDGPU.csdata,"",@progbits
; Kernel info:
; codeLenInByte = 412
; TotalNumSgprs: 20
; NumVgprs: 9
; ScratchSize: 0
; MemoryBound: 0
; FloatMode: 240
; IeeeMode: 1
; LDSByteSize: 0 bytes/workgroup (compile time only)
; SGPRBlocks: 2
; VGPRBlocks: 2
; NumSGPRsForWavesPerEU: 20
; NumVGPRsForWavesPerEU: 9
; Occupancy: 10
; WaveLimiterHint : 0
; COMPUTE_PGM_RSRC2:SCRATCH_EN: 0
; COMPUTE_PGM_RSRC2:USER_SGPR: 6
; COMPUTE_PGM_RSRC2:TRAP_HANDLER: 0
; COMPUTE_PGM_RSRC2:TGID_X_EN: 1
; COMPUTE_PGM_RSRC2:TGID_Y_EN: 0
; COMPUTE_PGM_RSRC2:TGID_Z_EN: 0
; COMPUTE_PGM_RSRC2:TIDIG_COMP_CNT: 0
	.section	.text._ZN9rocsparseL23extract_grab_nnz_kernelIiiEEvT0_PKT_21rocsparse_index_base_Pl,"axG",@progbits,_ZN9rocsparseL23extract_grab_nnz_kernelIiiEEvT0_PKT_21rocsparse_index_base_Pl,comdat
	.globl	_ZN9rocsparseL23extract_grab_nnz_kernelIiiEEvT0_PKT_21rocsparse_index_base_Pl ; -- Begin function _ZN9rocsparseL23extract_grab_nnz_kernelIiiEEvT0_PKT_21rocsparse_index_base_Pl
	.p2align	8
	.type	_ZN9rocsparseL23extract_grab_nnz_kernelIiiEEvT0_PKT_21rocsparse_index_base_Pl,@function
_ZN9rocsparseL23extract_grab_nnz_kernelIiiEEvT0_PKT_21rocsparse_index_base_Pl: ; @_ZN9rocsparseL23extract_grab_nnz_kernelIiiEEvT0_PKT_21rocsparse_index_base_Pl
; %bb.0:
	s_load_dword s0, s[4:5], 0x0
	s_load_dwordx2 s[2:3], s[4:5], 0x8
	s_load_dword s8, s[4:5], 0x10
	s_load_dwordx2 s[6:7], s[4:5], 0x18
	v_mov_b32_e32 v2, 0
	s_waitcnt lgkmcnt(0)
	s_ashr_i32 s1, s0, 31
	s_lshl_b64 s[0:1], s[0:1], 2
	s_add_u32 s0, s2, s0
	s_addc_u32 s1, s3, s1
	s_load_dword s0, s[0:1], 0x0
	s_waitcnt lgkmcnt(0)
	s_sub_i32 s0, s0, s8
	s_ashr_i32 s1, s0, 31
	v_mov_b32_e32 v0, s0
	v_mov_b32_e32 v1, s1
	global_store_dwordx2 v2, v[0:1], s[6:7]
	s_endpgm
	.section	.rodata,"a",@progbits
	.p2align	6, 0x0
	.amdhsa_kernel _ZN9rocsparseL23extract_grab_nnz_kernelIiiEEvT0_PKT_21rocsparse_index_base_Pl
		.amdhsa_group_segment_fixed_size 0
		.amdhsa_private_segment_fixed_size 0
		.amdhsa_kernarg_size 32
		.amdhsa_user_sgpr_count 6
		.amdhsa_user_sgpr_private_segment_buffer 1
		.amdhsa_user_sgpr_dispatch_ptr 0
		.amdhsa_user_sgpr_queue_ptr 0
		.amdhsa_user_sgpr_kernarg_segment_ptr 1
		.amdhsa_user_sgpr_dispatch_id 0
		.amdhsa_user_sgpr_flat_scratch_init 0
		.amdhsa_user_sgpr_private_segment_size 0
		.amdhsa_uses_dynamic_stack 0
		.amdhsa_system_sgpr_private_segment_wavefront_offset 0
		.amdhsa_system_sgpr_workgroup_id_x 1
		.amdhsa_system_sgpr_workgroup_id_y 0
		.amdhsa_system_sgpr_workgroup_id_z 0
		.amdhsa_system_sgpr_workgroup_info 0
		.amdhsa_system_vgpr_workitem_id 0
		.amdhsa_next_free_vgpr 3
		.amdhsa_next_free_sgpr 9
		.amdhsa_reserve_vcc 0
		.amdhsa_reserve_flat_scratch 0
		.amdhsa_float_round_mode_32 0
		.amdhsa_float_round_mode_16_64 0
		.amdhsa_float_denorm_mode_32 3
		.amdhsa_float_denorm_mode_16_64 3
		.amdhsa_dx10_clamp 1
		.amdhsa_ieee_mode 1
		.amdhsa_fp16_overflow 0
		.amdhsa_exception_fp_ieee_invalid_op 0
		.amdhsa_exception_fp_denorm_src 0
		.amdhsa_exception_fp_ieee_div_zero 0
		.amdhsa_exception_fp_ieee_overflow 0
		.amdhsa_exception_fp_ieee_underflow 0
		.amdhsa_exception_fp_ieee_inexact 0
		.amdhsa_exception_int_div_zero 0
	.end_amdhsa_kernel
	.section	.text._ZN9rocsparseL23extract_grab_nnz_kernelIiiEEvT0_PKT_21rocsparse_index_base_Pl,"axG",@progbits,_ZN9rocsparseL23extract_grab_nnz_kernelIiiEEvT0_PKT_21rocsparse_index_base_Pl,comdat
.Lfunc_end1:
	.size	_ZN9rocsparseL23extract_grab_nnz_kernelIiiEEvT0_PKT_21rocsparse_index_base_Pl, .Lfunc_end1-_ZN9rocsparseL23extract_grab_nnz_kernelIiiEEvT0_PKT_21rocsparse_index_base_Pl
                                        ; -- End function
	.set _ZN9rocsparseL23extract_grab_nnz_kernelIiiEEvT0_PKT_21rocsparse_index_base_Pl.num_vgpr, 3
	.set _ZN9rocsparseL23extract_grab_nnz_kernelIiiEEvT0_PKT_21rocsparse_index_base_Pl.num_agpr, 0
	.set _ZN9rocsparseL23extract_grab_nnz_kernelIiiEEvT0_PKT_21rocsparse_index_base_Pl.numbered_sgpr, 9
	.set _ZN9rocsparseL23extract_grab_nnz_kernelIiiEEvT0_PKT_21rocsparse_index_base_Pl.num_named_barrier, 0
	.set _ZN9rocsparseL23extract_grab_nnz_kernelIiiEEvT0_PKT_21rocsparse_index_base_Pl.private_seg_size, 0
	.set _ZN9rocsparseL23extract_grab_nnz_kernelIiiEEvT0_PKT_21rocsparse_index_base_Pl.uses_vcc, 0
	.set _ZN9rocsparseL23extract_grab_nnz_kernelIiiEEvT0_PKT_21rocsparse_index_base_Pl.uses_flat_scratch, 0
	.set _ZN9rocsparseL23extract_grab_nnz_kernelIiiEEvT0_PKT_21rocsparse_index_base_Pl.has_dyn_sized_stack, 0
	.set _ZN9rocsparseL23extract_grab_nnz_kernelIiiEEvT0_PKT_21rocsparse_index_base_Pl.has_recursion, 0
	.set _ZN9rocsparseL23extract_grab_nnz_kernelIiiEEvT0_PKT_21rocsparse_index_base_Pl.has_indirect_call, 0
	.section	.AMDGPU.csdata,"",@progbits
; Kernel info:
; codeLenInByte = 96
; TotalNumSgprs: 13
; NumVgprs: 3
; ScratchSize: 0
; MemoryBound: 0
; FloatMode: 240
; IeeeMode: 1
; LDSByteSize: 0 bytes/workgroup (compile time only)
; SGPRBlocks: 1
; VGPRBlocks: 0
; NumSGPRsForWavesPerEU: 13
; NumVGPRsForWavesPerEU: 3
; Occupancy: 10
; WaveLimiterHint : 0
; COMPUTE_PGM_RSRC2:SCRATCH_EN: 0
; COMPUTE_PGM_RSRC2:USER_SGPR: 6
; COMPUTE_PGM_RSRC2:TRAP_HANDLER: 0
; COMPUTE_PGM_RSRC2:TGID_X_EN: 1
; COMPUTE_PGM_RSRC2:TGID_Y_EN: 0
; COMPUTE_PGM_RSRC2:TGID_Z_EN: 0
; COMPUTE_PGM_RSRC2:TIDIG_COMP_CNT: 0
	.section	.text._ZN9rocsparseL20extract_count_kernelILj1024EilEEvT1_PKT0_PKS1_21rocsparse_index_base_b20rocsparse_diag_type_PS2_,"axG",@progbits,_ZN9rocsparseL20extract_count_kernelILj1024EilEEvT1_PKT0_PKS1_21rocsparse_index_base_b20rocsparse_diag_type_PS2_,comdat
	.globl	_ZN9rocsparseL20extract_count_kernelILj1024EilEEvT1_PKT0_PKS1_21rocsparse_index_base_b20rocsparse_diag_type_PS2_ ; -- Begin function _ZN9rocsparseL20extract_count_kernelILj1024EilEEvT1_PKT0_PKS1_21rocsparse_index_base_b20rocsparse_diag_type_PS2_
	.p2align	8
	.type	_ZN9rocsparseL20extract_count_kernelILj1024EilEEvT1_PKT0_PKS1_21rocsparse_index_base_b20rocsparse_diag_type_PS2_,@function
_ZN9rocsparseL20extract_count_kernelILj1024EilEEvT1_PKT0_PKS1_21rocsparse_index_base_b20rocsparse_diag_type_PS2_: ; @_ZN9rocsparseL20extract_count_kernelILj1024EilEEvT1_PKT0_PKS1_21rocsparse_index_base_b20rocsparse_diag_type_PS2_
; %bb.0:
	s_load_dword s2, s[4:5], 0x3c
	s_load_dwordx2 s[0:1], s[4:5], 0x0
	s_waitcnt lgkmcnt(0)
	s_and_b32 s2, s2, 0xffff
	s_mul_i32 s6, s6, s2
	v_add_u32_e32 v0, s6, v0
	v_ashrrev_i32_e32 v1, 31, v0
	v_cmp_gt_i64_e32 vcc, s[0:1], v[0:1]
	s_and_saveexec_b64 s[0:1], vcc
	s_cbranch_execz .LBB2_17
; %bb.1:
	s_load_dwordx2 s[0:1], s[4:5], 0x8
	s_load_dwordx2 s[2:3], s[4:5], 0x28
	v_lshlrev_b64 v[2:3], 2, v[0:1]
	v_mov_b32_e32 v10, 0
	s_waitcnt lgkmcnt(0)
	v_mov_b32_e32 v5, s1
	v_add_co_u32_e32 v4, vcc, s0, v2
	v_addc_co_u32_e32 v5, vcc, v5, v3, vcc
	global_load_dwordx2 v[4:5], v[4:5], off
	s_waitcnt vmcnt(0)
	v_cmp_lt_i32_e32 vcc, v4, v5
	s_and_saveexec_b64 s[6:7], vcc
	s_cbranch_execz .LBB2_16
; %bb.2:
	s_load_dwordx4 s[8:11], s[4:5], 0x18
	s_load_dwordx2 s[0:1], s[4:5], 0x10
	v_mov_b32_e32 v10, 0
	s_mov_b64 s[12:13], 0
	s_waitcnt lgkmcnt(0)
	v_subrev_u32_e32 v4, s8, v4
	v_subrev_u32_e32 v9, s8, v5
	s_bitcmp1_b32 s9, 0
	v_ashrrev_i32_e32 v5, 31, v4
	s_cselect_b64 s[4:5], -1, 0
	v_lshlrev_b64 v[5:6], 3, v[4:5]
	s_xor_b64 s[4:5], s[4:5], -1
	s_cmp_lg_u32 s10, 1
	v_mov_b32_e32 v7, s1
	v_add_co_u32_e32 v5, vcc, s0, v5
	s_cselect_b64 s[10:11], -1, 0
	v_addc_co_u32_e32 v6, vcc, v7, v6, vcc
	s_branch .LBB2_4
.LBB2_3:                                ;   in Loop: Header=BB2_4 Depth=1
	v_add_u32_e32 v4, 1, v4
	v_cmp_ge_i32_e32 vcc, v4, v9
	v_cndmask_b32_e64 v7, 0, 1, s[14:15]
	s_or_b64 s[12:13], vcc, s[12:13]
	v_add_co_u32_e32 v5, vcc, 8, v5
	v_add_u32_e32 v10, v10, v7
	v_addc_co_u32_e32 v6, vcc, 0, v6, vcc
	s_andn2_b64 exec, exec, s[12:13]
	s_cbranch_execz .LBB2_15
.LBB2_4:                                ; =>This Inner Loop Header: Depth=1
	global_load_dwordx2 v[7:8], v[5:6], off
	s_and_b64 vcc, exec, s[4:5]
	s_mov_b64 s[16:17], -1
                                        ; implicit-def: $sgpr14_sgpr15
	s_waitcnt vmcnt(0)
	v_subrev_co_u32_e64 v7, s[0:1], s8, v7
	v_subbrev_co_u32_e64 v8, s[0:1], 0, v8, s[0:1]
	s_cbranch_vccz .LBB2_10
; %bb.5:                                ;   in Loop: Header=BB2_4 Depth=1
	s_mov_b64 s[0:1], -1
	s_and_b64 vcc, exec, s[10:11]
                                        ; implicit-def: $sgpr14_sgpr15
	s_cbranch_vccz .LBB2_7
; %bb.6:                                ;   in Loop: Header=BB2_4 Depth=1
	v_cmp_ge_i64_e64 s[14:15], v[7:8], v[0:1]
	s_mov_b64 s[0:1], 0
.LBB2_7:                                ;   in Loop: Header=BB2_4 Depth=1
	s_andn2_b64 vcc, exec, s[0:1]
	s_cbranch_vccnz .LBB2_9
; %bb.8:                                ;   in Loop: Header=BB2_4 Depth=1
	v_cmp_gt_i64_e32 vcc, v[7:8], v[0:1]
	s_andn2_b64 s[0:1], s[14:15], exec
	s_and_b64 s[14:15], vcc, exec
	s_or_b64 s[14:15], s[0:1], s[14:15]
.LBB2_9:                                ;   in Loop: Header=BB2_4 Depth=1
	s_mov_b64 s[16:17], 0
.LBB2_10:                               ;   in Loop: Header=BB2_4 Depth=1
	s_andn2_b64 vcc, exec, s[16:17]
	s_cbranch_vccnz .LBB2_3
; %bb.11:                               ;   in Loop: Header=BB2_4 Depth=1
	s_mov_b64 s[0:1], -1
	s_and_b64 vcc, exec, s[10:11]
                                        ; implicit-def: $sgpr14_sgpr15
	s_cbranch_vccz .LBB2_13
; %bb.12:                               ;   in Loop: Header=BB2_4 Depth=1
	v_cmp_le_i64_e64 s[14:15], v[7:8], v[0:1]
	s_mov_b64 s[0:1], 0
.LBB2_13:                               ;   in Loop: Header=BB2_4 Depth=1
	s_andn2_b64 vcc, exec, s[0:1]
	s_cbranch_vccnz .LBB2_3
; %bb.14:                               ;   in Loop: Header=BB2_4 Depth=1
	v_cmp_lt_i64_e32 vcc, v[7:8], v[0:1]
	s_andn2_b64 s[0:1], s[14:15], exec
	s_and_b64 s[14:15], vcc, exec
	s_or_b64 s[14:15], s[0:1], s[14:15]
	s_branch .LBB2_3
.LBB2_15:
	s_or_b64 exec, exec, s[12:13]
.LBB2_16:
	s_or_b64 exec, exec, s[6:7]
	v_mov_b32_e32 v1, s3
	v_add_co_u32_e32 v0, vcc, s2, v2
	v_addc_co_u32_e32 v1, vcc, v1, v3, vcc
	global_store_dword v[0:1], v10, off offset:4
.LBB2_17:
	s_endpgm
	.section	.rodata,"a",@progbits
	.p2align	6, 0x0
	.amdhsa_kernel _ZN9rocsparseL20extract_count_kernelILj1024EilEEvT1_PKT0_PKS1_21rocsparse_index_base_b20rocsparse_diag_type_PS2_
		.amdhsa_group_segment_fixed_size 0
		.amdhsa_private_segment_fixed_size 0
		.amdhsa_kernarg_size 304
		.amdhsa_user_sgpr_count 6
		.amdhsa_user_sgpr_private_segment_buffer 1
		.amdhsa_user_sgpr_dispatch_ptr 0
		.amdhsa_user_sgpr_queue_ptr 0
		.amdhsa_user_sgpr_kernarg_segment_ptr 1
		.amdhsa_user_sgpr_dispatch_id 0
		.amdhsa_user_sgpr_flat_scratch_init 0
		.amdhsa_user_sgpr_private_segment_size 0
		.amdhsa_uses_dynamic_stack 0
		.amdhsa_system_sgpr_private_segment_wavefront_offset 0
		.amdhsa_system_sgpr_workgroup_id_x 1
		.amdhsa_system_sgpr_workgroup_id_y 0
		.amdhsa_system_sgpr_workgroup_id_z 0
		.amdhsa_system_sgpr_workgroup_info 0
		.amdhsa_system_vgpr_workitem_id 0
		.amdhsa_next_free_vgpr 11
		.amdhsa_next_free_sgpr 18
		.amdhsa_reserve_vcc 1
		.amdhsa_reserve_flat_scratch 0
		.amdhsa_float_round_mode_32 0
		.amdhsa_float_round_mode_16_64 0
		.amdhsa_float_denorm_mode_32 3
		.amdhsa_float_denorm_mode_16_64 3
		.amdhsa_dx10_clamp 1
		.amdhsa_ieee_mode 1
		.amdhsa_fp16_overflow 0
		.amdhsa_exception_fp_ieee_invalid_op 0
		.amdhsa_exception_fp_denorm_src 0
		.amdhsa_exception_fp_ieee_div_zero 0
		.amdhsa_exception_fp_ieee_overflow 0
		.amdhsa_exception_fp_ieee_underflow 0
		.amdhsa_exception_fp_ieee_inexact 0
		.amdhsa_exception_int_div_zero 0
	.end_amdhsa_kernel
	.section	.text._ZN9rocsparseL20extract_count_kernelILj1024EilEEvT1_PKT0_PKS1_21rocsparse_index_base_b20rocsparse_diag_type_PS2_,"axG",@progbits,_ZN9rocsparseL20extract_count_kernelILj1024EilEEvT1_PKT0_PKS1_21rocsparse_index_base_b20rocsparse_diag_type_PS2_,comdat
.Lfunc_end2:
	.size	_ZN9rocsparseL20extract_count_kernelILj1024EilEEvT1_PKT0_PKS1_21rocsparse_index_base_b20rocsparse_diag_type_PS2_, .Lfunc_end2-_ZN9rocsparseL20extract_count_kernelILj1024EilEEvT1_PKT0_PKS1_21rocsparse_index_base_b20rocsparse_diag_type_PS2_
                                        ; -- End function
	.set _ZN9rocsparseL20extract_count_kernelILj1024EilEEvT1_PKT0_PKS1_21rocsparse_index_base_b20rocsparse_diag_type_PS2_.num_vgpr, 11
	.set _ZN9rocsparseL20extract_count_kernelILj1024EilEEvT1_PKT0_PKS1_21rocsparse_index_base_b20rocsparse_diag_type_PS2_.num_agpr, 0
	.set _ZN9rocsparseL20extract_count_kernelILj1024EilEEvT1_PKT0_PKS1_21rocsparse_index_base_b20rocsparse_diag_type_PS2_.numbered_sgpr, 18
	.set _ZN9rocsparseL20extract_count_kernelILj1024EilEEvT1_PKT0_PKS1_21rocsparse_index_base_b20rocsparse_diag_type_PS2_.num_named_barrier, 0
	.set _ZN9rocsparseL20extract_count_kernelILj1024EilEEvT1_PKT0_PKS1_21rocsparse_index_base_b20rocsparse_diag_type_PS2_.private_seg_size, 0
	.set _ZN9rocsparseL20extract_count_kernelILj1024EilEEvT1_PKT0_PKS1_21rocsparse_index_base_b20rocsparse_diag_type_PS2_.uses_vcc, 1
	.set _ZN9rocsparseL20extract_count_kernelILj1024EilEEvT1_PKT0_PKS1_21rocsparse_index_base_b20rocsparse_diag_type_PS2_.uses_flat_scratch, 0
	.set _ZN9rocsparseL20extract_count_kernelILj1024EilEEvT1_PKT0_PKS1_21rocsparse_index_base_b20rocsparse_diag_type_PS2_.has_dyn_sized_stack, 0
	.set _ZN9rocsparseL20extract_count_kernelILj1024EilEEvT1_PKT0_PKS1_21rocsparse_index_base_b20rocsparse_diag_type_PS2_.has_recursion, 0
	.set _ZN9rocsparseL20extract_count_kernelILj1024EilEEvT1_PKT0_PKS1_21rocsparse_index_base_b20rocsparse_diag_type_PS2_.has_indirect_call, 0
	.section	.AMDGPU.csdata,"",@progbits
; Kernel info:
; codeLenInByte = 428
; TotalNumSgprs: 22
; NumVgprs: 11
; ScratchSize: 0
; MemoryBound: 0
; FloatMode: 240
; IeeeMode: 1
; LDSByteSize: 0 bytes/workgroup (compile time only)
; SGPRBlocks: 2
; VGPRBlocks: 2
; NumSGPRsForWavesPerEU: 22
; NumVGPRsForWavesPerEU: 11
; Occupancy: 10
; WaveLimiterHint : 0
; COMPUTE_PGM_RSRC2:SCRATCH_EN: 0
; COMPUTE_PGM_RSRC2:USER_SGPR: 6
; COMPUTE_PGM_RSRC2:TRAP_HANDLER: 0
; COMPUTE_PGM_RSRC2:TGID_X_EN: 1
; COMPUTE_PGM_RSRC2:TGID_Y_EN: 0
; COMPUTE_PGM_RSRC2:TGID_Z_EN: 0
; COMPUTE_PGM_RSRC2:TIDIG_COMP_CNT: 0
	.section	.text._ZN9rocsparseL23extract_grab_nnz_kernelIilEEvT0_PKT_21rocsparse_index_base_Pl,"axG",@progbits,_ZN9rocsparseL23extract_grab_nnz_kernelIilEEvT0_PKT_21rocsparse_index_base_Pl,comdat
	.globl	_ZN9rocsparseL23extract_grab_nnz_kernelIilEEvT0_PKT_21rocsparse_index_base_Pl ; -- Begin function _ZN9rocsparseL23extract_grab_nnz_kernelIilEEvT0_PKT_21rocsparse_index_base_Pl
	.p2align	8
	.type	_ZN9rocsparseL23extract_grab_nnz_kernelIilEEvT0_PKT_21rocsparse_index_base_Pl,@function
_ZN9rocsparseL23extract_grab_nnz_kernelIilEEvT0_PKT_21rocsparse_index_base_Pl: ; @_ZN9rocsparseL23extract_grab_nnz_kernelIilEEvT0_PKT_21rocsparse_index_base_Pl
; %bb.0:
	s_load_dwordx4 s[0:3], s[4:5], 0x0
	s_load_dword s6, s[4:5], 0x10
	v_mov_b32_e32 v2, 0
	s_waitcnt lgkmcnt(0)
	s_lshl_b64 s[0:1], s[0:1], 2
	s_add_u32 s0, s2, s0
	s_addc_u32 s1, s3, s1
	s_load_dword s2, s[0:1], 0x0
	s_waitcnt lgkmcnt(0)
	s_sub_i32 s2, s2, s6
	s_load_dwordx2 s[0:1], s[4:5], 0x18
	s_ashr_i32 s3, s2, 31
	v_mov_b32_e32 v0, s2
	v_mov_b32_e32 v1, s3
	s_waitcnt lgkmcnt(0)
	global_store_dwordx2 v2, v[0:1], s[0:1]
	s_endpgm
	.section	.rodata,"a",@progbits
	.p2align	6, 0x0
	.amdhsa_kernel _ZN9rocsparseL23extract_grab_nnz_kernelIilEEvT0_PKT_21rocsparse_index_base_Pl
		.amdhsa_group_segment_fixed_size 0
		.amdhsa_private_segment_fixed_size 0
		.amdhsa_kernarg_size 32
		.amdhsa_user_sgpr_count 6
		.amdhsa_user_sgpr_private_segment_buffer 1
		.amdhsa_user_sgpr_dispatch_ptr 0
		.amdhsa_user_sgpr_queue_ptr 0
		.amdhsa_user_sgpr_kernarg_segment_ptr 1
		.amdhsa_user_sgpr_dispatch_id 0
		.amdhsa_user_sgpr_flat_scratch_init 0
		.amdhsa_user_sgpr_private_segment_size 0
		.amdhsa_uses_dynamic_stack 0
		.amdhsa_system_sgpr_private_segment_wavefront_offset 0
		.amdhsa_system_sgpr_workgroup_id_x 1
		.amdhsa_system_sgpr_workgroup_id_y 0
		.amdhsa_system_sgpr_workgroup_id_z 0
		.amdhsa_system_sgpr_workgroup_info 0
		.amdhsa_system_vgpr_workitem_id 0
		.amdhsa_next_free_vgpr 3
		.amdhsa_next_free_sgpr 7
		.amdhsa_reserve_vcc 0
		.amdhsa_reserve_flat_scratch 0
		.amdhsa_float_round_mode_32 0
		.amdhsa_float_round_mode_16_64 0
		.amdhsa_float_denorm_mode_32 3
		.amdhsa_float_denorm_mode_16_64 3
		.amdhsa_dx10_clamp 1
		.amdhsa_ieee_mode 1
		.amdhsa_fp16_overflow 0
		.amdhsa_exception_fp_ieee_invalid_op 0
		.amdhsa_exception_fp_denorm_src 0
		.amdhsa_exception_fp_ieee_div_zero 0
		.amdhsa_exception_fp_ieee_overflow 0
		.amdhsa_exception_fp_ieee_underflow 0
		.amdhsa_exception_fp_ieee_inexact 0
		.amdhsa_exception_int_div_zero 0
	.end_amdhsa_kernel
	.section	.text._ZN9rocsparseL23extract_grab_nnz_kernelIilEEvT0_PKT_21rocsparse_index_base_Pl,"axG",@progbits,_ZN9rocsparseL23extract_grab_nnz_kernelIilEEvT0_PKT_21rocsparse_index_base_Pl,comdat
.Lfunc_end3:
	.size	_ZN9rocsparseL23extract_grab_nnz_kernelIilEEvT0_PKT_21rocsparse_index_base_Pl, .Lfunc_end3-_ZN9rocsparseL23extract_grab_nnz_kernelIilEEvT0_PKT_21rocsparse_index_base_Pl
                                        ; -- End function
	.set _ZN9rocsparseL23extract_grab_nnz_kernelIilEEvT0_PKT_21rocsparse_index_base_Pl.num_vgpr, 3
	.set _ZN9rocsparseL23extract_grab_nnz_kernelIilEEvT0_PKT_21rocsparse_index_base_Pl.num_agpr, 0
	.set _ZN9rocsparseL23extract_grab_nnz_kernelIilEEvT0_PKT_21rocsparse_index_base_Pl.numbered_sgpr, 7
	.set _ZN9rocsparseL23extract_grab_nnz_kernelIilEEvT0_PKT_21rocsparse_index_base_Pl.num_named_barrier, 0
	.set _ZN9rocsparseL23extract_grab_nnz_kernelIilEEvT0_PKT_21rocsparse_index_base_Pl.private_seg_size, 0
	.set _ZN9rocsparseL23extract_grab_nnz_kernelIilEEvT0_PKT_21rocsparse_index_base_Pl.uses_vcc, 0
	.set _ZN9rocsparseL23extract_grab_nnz_kernelIilEEvT0_PKT_21rocsparse_index_base_Pl.uses_flat_scratch, 0
	.set _ZN9rocsparseL23extract_grab_nnz_kernelIilEEvT0_PKT_21rocsparse_index_base_Pl.has_dyn_sized_stack, 0
	.set _ZN9rocsparseL23extract_grab_nnz_kernelIilEEvT0_PKT_21rocsparse_index_base_Pl.has_recursion, 0
	.set _ZN9rocsparseL23extract_grab_nnz_kernelIilEEvT0_PKT_21rocsparse_index_base_Pl.has_indirect_call, 0
	.section	.AMDGPU.csdata,"",@progbits
; Kernel info:
; codeLenInByte = 88
; TotalNumSgprs: 11
; NumVgprs: 3
; ScratchSize: 0
; MemoryBound: 1
; FloatMode: 240
; IeeeMode: 1
; LDSByteSize: 0 bytes/workgroup (compile time only)
; SGPRBlocks: 1
; VGPRBlocks: 0
; NumSGPRsForWavesPerEU: 11
; NumVGPRsForWavesPerEU: 3
; Occupancy: 10
; WaveLimiterHint : 1
; COMPUTE_PGM_RSRC2:SCRATCH_EN: 0
; COMPUTE_PGM_RSRC2:USER_SGPR: 6
; COMPUTE_PGM_RSRC2:TRAP_HANDLER: 0
; COMPUTE_PGM_RSRC2:TGID_X_EN: 1
; COMPUTE_PGM_RSRC2:TGID_Y_EN: 0
; COMPUTE_PGM_RSRC2:TGID_Z_EN: 0
; COMPUTE_PGM_RSRC2:TIDIG_COMP_CNT: 0
	.section	.text._ZN9rocsparseL20extract_count_kernelILj1024EliEEvT1_PKT0_PKS1_21rocsparse_index_base_b20rocsparse_diag_type_PS2_,"axG",@progbits,_ZN9rocsparseL20extract_count_kernelILj1024EliEEvT1_PKT0_PKS1_21rocsparse_index_base_b20rocsparse_diag_type_PS2_,comdat
	.globl	_ZN9rocsparseL20extract_count_kernelILj1024EliEEvT1_PKT0_PKS1_21rocsparse_index_base_b20rocsparse_diag_type_PS2_ ; -- Begin function _ZN9rocsparseL20extract_count_kernelILj1024EliEEvT1_PKT0_PKS1_21rocsparse_index_base_b20rocsparse_diag_type_PS2_
	.p2align	8
	.type	_ZN9rocsparseL20extract_count_kernelILj1024EliEEvT1_PKT0_PKS1_21rocsparse_index_base_b20rocsparse_diag_type_PS2_,@function
_ZN9rocsparseL20extract_count_kernelILj1024EliEEvT1_PKT0_PKS1_21rocsparse_index_base_b20rocsparse_diag_type_PS2_: ; @_ZN9rocsparseL20extract_count_kernelILj1024EliEEvT1_PKT0_PKS1_21rocsparse_index_base_b20rocsparse_diag_type_PS2_
; %bb.0:
	s_load_dword s0, s[4:5], 0x0
	s_load_dword s2, s[4:5], 0x3c
	v_mov_b32_e32 v5, 0
	s_waitcnt lgkmcnt(0)
	s_ashr_i32 s1, s0, 31
	s_and_b32 s2, s2, 0xffff
	s_mul_i32 s6, s6, s2
	v_add_u32_e32 v4, s6, v0
	v_cmp_gt_i64_e32 vcc, s[0:1], v[4:5]
	s_and_saveexec_b64 s[0:1], vcc
	s_cbranch_execz .LBB4_17
; %bb.1:
	s_load_dwordx2 s[0:1], s[4:5], 0x8
	s_load_dwordx2 s[2:3], s[4:5], 0x28
	v_lshlrev_b64 v[5:6], 3, v[4:5]
	v_mov_b32_e32 v7, 0
	v_mov_b32_e32 v8, 0
	s_waitcnt lgkmcnt(0)
	v_mov_b32_e32 v1, s1
	v_add_co_u32_e32 v0, vcc, s0, v5
	v_addc_co_u32_e32 v1, vcc, v1, v6, vcc
	global_load_dwordx4 v[0:3], v[0:1], off
	s_waitcnt vmcnt(0)
	v_cmp_lt_i64_e32 vcc, v[0:1], v[2:3]
	s_and_saveexec_b64 s[6:7], vcc
	s_cbranch_execz .LBB4_16
; %bb.2:
	s_load_dwordx4 s[8:11], s[4:5], 0x18
	s_load_dwordx2 s[0:1], s[4:5], 0x10
	s_mov_b32 s13, 0
	s_waitcnt lgkmcnt(0)
	v_subrev_co_u32_e32 v2, vcc, s8, v2
	s_bitcmp1_b32 s9, 0
	v_subbrev_co_u32_e32 v3, vcc, 0, v3, vcc
	s_cselect_b64 s[4:5], -1, 0
	s_xor_b64 s[4:5], s[4:5], -1
	v_subrev_co_u32_e32 v9, vcc, s8, v0
	s_mov_b32 s12, s8
	v_subbrev_co_u32_e32 v10, vcc, 0, v1, vcc
	s_cmp_lg_u32 s10, 1
	v_lshlrev_b64 v[0:1], 2, v[0:1]
	s_cselect_b64 s[10:11], -1, 0
	s_lshl_b64 s[12:13], s[12:13], 2
	v_mov_b32_e32 v7, s13
	v_subrev_co_u32_e32 v0, vcc, s12, v0
	v_subb_co_u32_e32 v1, vcc, v1, v7, vcc
	v_mov_b32_e32 v7, s1
	v_add_co_u32_e32 v0, vcc, s0, v0
	v_addc_co_u32_e32 v1, vcc, v7, v1, vcc
	v_mov_b32_e32 v7, 0
	v_mov_b32_e32 v8, 0
	s_mov_b64 s[12:13], 0
	s_branch .LBB4_4
.LBB4_3:                                ;   in Loop: Header=BB4_4 Depth=1
	v_add_co_u32_e32 v9, vcc, 1, v9
	v_addc_co_u32_e32 v10, vcc, 0, v10, vcc
	v_cmp_ge_i64_e32 vcc, v[9:10], v[2:3]
	v_cndmask_b32_e64 v11, 0, 1, s[0:1]
	v_add_co_u32_e64 v7, s[0:1], v7, v11
	s_or_b64 s[12:13], vcc, s[12:13]
	v_add_co_u32_e32 v0, vcc, 4, v0
	v_addc_co_u32_e64 v8, s[0:1], 0, v8, s[0:1]
	v_addc_co_u32_e32 v1, vcc, 0, v1, vcc
	s_andn2_b64 exec, exec, s[12:13]
	s_cbranch_execz .LBB4_15
.LBB4_4:                                ; =>This Inner Loop Header: Depth=1
	global_load_dword v11, v[0:1], off
	s_and_b64 vcc, exec, s[4:5]
	s_mov_b64 s[14:15], -1
                                        ; implicit-def: $sgpr0_sgpr1
	s_waitcnt vmcnt(0)
	v_subrev_u32_e32 v11, s8, v11
	s_cbranch_vccz .LBB4_10
; %bb.5:                                ;   in Loop: Header=BB4_4 Depth=1
	s_and_b64 vcc, exec, s[10:11]
                                        ; implicit-def: $sgpr0_sgpr1
	s_cbranch_vccz .LBB4_7
; %bb.6:                                ;   in Loop: Header=BB4_4 Depth=1
	v_cmp_le_i32_e64 s[0:1], v4, v11
	s_mov_b64 s[14:15], 0
.LBB4_7:                                ;   in Loop: Header=BB4_4 Depth=1
	s_andn2_b64 vcc, exec, s[14:15]
	s_cbranch_vccnz .LBB4_9
; %bb.8:                                ;   in Loop: Header=BB4_4 Depth=1
	v_cmp_lt_i32_e32 vcc, v4, v11
	s_andn2_b64 s[0:1], s[0:1], exec
	s_and_b64 s[14:15], vcc, exec
	s_or_b64 s[0:1], s[0:1], s[14:15]
.LBB4_9:                                ;   in Loop: Header=BB4_4 Depth=1
	s_mov_b64 s[14:15], 0
.LBB4_10:                               ;   in Loop: Header=BB4_4 Depth=1
	s_andn2_b64 vcc, exec, s[14:15]
	s_cbranch_vccnz .LBB4_3
; %bb.11:                               ;   in Loop: Header=BB4_4 Depth=1
	s_mov_b64 s[14:15], -1
	s_and_b64 vcc, exec, s[10:11]
                                        ; implicit-def: $sgpr0_sgpr1
	s_cbranch_vccz .LBB4_13
; %bb.12:                               ;   in Loop: Header=BB4_4 Depth=1
	v_cmp_ge_i32_e64 s[0:1], v4, v11
	s_mov_b64 s[14:15], 0
.LBB4_13:                               ;   in Loop: Header=BB4_4 Depth=1
	s_andn2_b64 vcc, exec, s[14:15]
	s_cbranch_vccnz .LBB4_3
; %bb.14:                               ;   in Loop: Header=BB4_4 Depth=1
	v_cmp_gt_i32_e32 vcc, v4, v11
	s_andn2_b64 s[0:1], s[0:1], exec
	s_and_b64 s[14:15], vcc, exec
	s_or_b64 s[0:1], s[0:1], s[14:15]
	s_branch .LBB4_3
.LBB4_15:
	s_or_b64 exec, exec, s[12:13]
.LBB4_16:
	s_or_b64 exec, exec, s[6:7]
	v_mov_b32_e32 v1, s3
	v_add_co_u32_e32 v0, vcc, s2, v5
	v_addc_co_u32_e32 v1, vcc, v1, v6, vcc
	global_store_dwordx2 v[0:1], v[7:8], off offset:8
.LBB4_17:
	s_endpgm
	.section	.rodata,"a",@progbits
	.p2align	6, 0x0
	.amdhsa_kernel _ZN9rocsparseL20extract_count_kernelILj1024EliEEvT1_PKT0_PKS1_21rocsparse_index_base_b20rocsparse_diag_type_PS2_
		.amdhsa_group_segment_fixed_size 0
		.amdhsa_private_segment_fixed_size 0
		.amdhsa_kernarg_size 304
		.amdhsa_user_sgpr_count 6
		.amdhsa_user_sgpr_private_segment_buffer 1
		.amdhsa_user_sgpr_dispatch_ptr 0
		.amdhsa_user_sgpr_queue_ptr 0
		.amdhsa_user_sgpr_kernarg_segment_ptr 1
		.amdhsa_user_sgpr_dispatch_id 0
		.amdhsa_user_sgpr_flat_scratch_init 0
		.amdhsa_user_sgpr_private_segment_size 0
		.amdhsa_uses_dynamic_stack 0
		.amdhsa_system_sgpr_private_segment_wavefront_offset 0
		.amdhsa_system_sgpr_workgroup_id_x 1
		.amdhsa_system_sgpr_workgroup_id_y 0
		.amdhsa_system_sgpr_workgroup_id_z 0
		.amdhsa_system_sgpr_workgroup_info 0
		.amdhsa_system_vgpr_workitem_id 0
		.amdhsa_next_free_vgpr 12
		.amdhsa_next_free_sgpr 16
		.amdhsa_reserve_vcc 1
		.amdhsa_reserve_flat_scratch 0
		.amdhsa_float_round_mode_32 0
		.amdhsa_float_round_mode_16_64 0
		.amdhsa_float_denorm_mode_32 3
		.amdhsa_float_denorm_mode_16_64 3
		.amdhsa_dx10_clamp 1
		.amdhsa_ieee_mode 1
		.amdhsa_fp16_overflow 0
		.amdhsa_exception_fp_ieee_invalid_op 0
		.amdhsa_exception_fp_denorm_src 0
		.amdhsa_exception_fp_ieee_div_zero 0
		.amdhsa_exception_fp_ieee_overflow 0
		.amdhsa_exception_fp_ieee_underflow 0
		.amdhsa_exception_fp_ieee_inexact 0
		.amdhsa_exception_int_div_zero 0
	.end_amdhsa_kernel
	.section	.text._ZN9rocsparseL20extract_count_kernelILj1024EliEEvT1_PKT0_PKS1_21rocsparse_index_base_b20rocsparse_diag_type_PS2_,"axG",@progbits,_ZN9rocsparseL20extract_count_kernelILj1024EliEEvT1_PKT0_PKS1_21rocsparse_index_base_b20rocsparse_diag_type_PS2_,comdat
.Lfunc_end4:
	.size	_ZN9rocsparseL20extract_count_kernelILj1024EliEEvT1_PKT0_PKS1_21rocsparse_index_base_b20rocsparse_diag_type_PS2_, .Lfunc_end4-_ZN9rocsparseL20extract_count_kernelILj1024EliEEvT1_PKT0_PKS1_21rocsparse_index_base_b20rocsparse_diag_type_PS2_
                                        ; -- End function
	.set _ZN9rocsparseL20extract_count_kernelILj1024EliEEvT1_PKT0_PKS1_21rocsparse_index_base_b20rocsparse_diag_type_PS2_.num_vgpr, 12
	.set _ZN9rocsparseL20extract_count_kernelILj1024EliEEvT1_PKT0_PKS1_21rocsparse_index_base_b20rocsparse_diag_type_PS2_.num_agpr, 0
	.set _ZN9rocsparseL20extract_count_kernelILj1024EliEEvT1_PKT0_PKS1_21rocsparse_index_base_b20rocsparse_diag_type_PS2_.numbered_sgpr, 16
	.set _ZN9rocsparseL20extract_count_kernelILj1024EliEEvT1_PKT0_PKS1_21rocsparse_index_base_b20rocsparse_diag_type_PS2_.num_named_barrier, 0
	.set _ZN9rocsparseL20extract_count_kernelILj1024EliEEvT1_PKT0_PKS1_21rocsparse_index_base_b20rocsparse_diag_type_PS2_.private_seg_size, 0
	.set _ZN9rocsparseL20extract_count_kernelILj1024EliEEvT1_PKT0_PKS1_21rocsparse_index_base_b20rocsparse_diag_type_PS2_.uses_vcc, 1
	.set _ZN9rocsparseL20extract_count_kernelILj1024EliEEvT1_PKT0_PKS1_21rocsparse_index_base_b20rocsparse_diag_type_PS2_.uses_flat_scratch, 0
	.set _ZN9rocsparseL20extract_count_kernelILj1024EliEEvT1_PKT0_PKS1_21rocsparse_index_base_b20rocsparse_diag_type_PS2_.has_dyn_sized_stack, 0
	.set _ZN9rocsparseL20extract_count_kernelILj1024EliEEvT1_PKT0_PKS1_21rocsparse_index_base_b20rocsparse_diag_type_PS2_.has_recursion, 0
	.set _ZN9rocsparseL20extract_count_kernelILj1024EliEEvT1_PKT0_PKS1_21rocsparse_index_base_b20rocsparse_diag_type_PS2_.has_indirect_call, 0
	.section	.AMDGPU.csdata,"",@progbits
; Kernel info:
; codeLenInByte = 468
; TotalNumSgprs: 20
; NumVgprs: 12
; ScratchSize: 0
; MemoryBound: 0
; FloatMode: 240
; IeeeMode: 1
; LDSByteSize: 0 bytes/workgroup (compile time only)
; SGPRBlocks: 2
; VGPRBlocks: 2
; NumSGPRsForWavesPerEU: 20
; NumVGPRsForWavesPerEU: 12
; Occupancy: 10
; WaveLimiterHint : 0
; COMPUTE_PGM_RSRC2:SCRATCH_EN: 0
; COMPUTE_PGM_RSRC2:USER_SGPR: 6
; COMPUTE_PGM_RSRC2:TRAP_HANDLER: 0
; COMPUTE_PGM_RSRC2:TGID_X_EN: 1
; COMPUTE_PGM_RSRC2:TGID_Y_EN: 0
; COMPUTE_PGM_RSRC2:TGID_Z_EN: 0
; COMPUTE_PGM_RSRC2:TIDIG_COMP_CNT: 0
	.section	.text._ZN9rocsparseL23extract_grab_nnz_kernelIliEEvT0_PKT_21rocsparse_index_base_Pl,"axG",@progbits,_ZN9rocsparseL23extract_grab_nnz_kernelIliEEvT0_PKT_21rocsparse_index_base_Pl,comdat
	.globl	_ZN9rocsparseL23extract_grab_nnz_kernelIliEEvT0_PKT_21rocsparse_index_base_Pl ; -- Begin function _ZN9rocsparseL23extract_grab_nnz_kernelIliEEvT0_PKT_21rocsparse_index_base_Pl
	.p2align	8
	.type	_ZN9rocsparseL23extract_grab_nnz_kernelIliEEvT0_PKT_21rocsparse_index_base_Pl,@function
_ZN9rocsparseL23extract_grab_nnz_kernelIliEEvT0_PKT_21rocsparse_index_base_Pl: ; @_ZN9rocsparseL23extract_grab_nnz_kernelIliEEvT0_PKT_21rocsparse_index_base_Pl
; %bb.0:
	s_load_dword s0, s[4:5], 0x0
	s_load_dwordx2 s[2:3], s[4:5], 0x8
	s_load_dword s8, s[4:5], 0x10
	s_load_dwordx2 s[6:7], s[4:5], 0x18
	v_mov_b32_e32 v2, 0
	s_waitcnt lgkmcnt(0)
	s_ashr_i32 s1, s0, 31
	s_lshl_b64 s[0:1], s[0:1], 3
	s_add_u32 s0, s2, s0
	s_addc_u32 s1, s3, s1
	s_load_dwordx2 s[0:1], s[0:1], 0x0
	s_waitcnt lgkmcnt(0)
	s_sub_u32 s0, s0, s8
	s_subb_u32 s1, s1, 0
	v_mov_b32_e32 v0, s0
	v_mov_b32_e32 v1, s1
	global_store_dwordx2 v2, v[0:1], s[6:7]
	s_endpgm
	.section	.rodata,"a",@progbits
	.p2align	6, 0x0
	.amdhsa_kernel _ZN9rocsparseL23extract_grab_nnz_kernelIliEEvT0_PKT_21rocsparse_index_base_Pl
		.amdhsa_group_segment_fixed_size 0
		.amdhsa_private_segment_fixed_size 0
		.amdhsa_kernarg_size 32
		.amdhsa_user_sgpr_count 6
		.amdhsa_user_sgpr_private_segment_buffer 1
		.amdhsa_user_sgpr_dispatch_ptr 0
		.amdhsa_user_sgpr_queue_ptr 0
		.amdhsa_user_sgpr_kernarg_segment_ptr 1
		.amdhsa_user_sgpr_dispatch_id 0
		.amdhsa_user_sgpr_flat_scratch_init 0
		.amdhsa_user_sgpr_private_segment_size 0
		.amdhsa_uses_dynamic_stack 0
		.amdhsa_system_sgpr_private_segment_wavefront_offset 0
		.amdhsa_system_sgpr_workgroup_id_x 1
		.amdhsa_system_sgpr_workgroup_id_y 0
		.amdhsa_system_sgpr_workgroup_id_z 0
		.amdhsa_system_sgpr_workgroup_info 0
		.amdhsa_system_vgpr_workitem_id 0
		.amdhsa_next_free_vgpr 3
		.amdhsa_next_free_sgpr 9
		.amdhsa_reserve_vcc 0
		.amdhsa_reserve_flat_scratch 0
		.amdhsa_float_round_mode_32 0
		.amdhsa_float_round_mode_16_64 0
		.amdhsa_float_denorm_mode_32 3
		.amdhsa_float_denorm_mode_16_64 3
		.amdhsa_dx10_clamp 1
		.amdhsa_ieee_mode 1
		.amdhsa_fp16_overflow 0
		.amdhsa_exception_fp_ieee_invalid_op 0
		.amdhsa_exception_fp_denorm_src 0
		.amdhsa_exception_fp_ieee_div_zero 0
		.amdhsa_exception_fp_ieee_overflow 0
		.amdhsa_exception_fp_ieee_underflow 0
		.amdhsa_exception_fp_ieee_inexact 0
		.amdhsa_exception_int_div_zero 0
	.end_amdhsa_kernel
	.section	.text._ZN9rocsparseL23extract_grab_nnz_kernelIliEEvT0_PKT_21rocsparse_index_base_Pl,"axG",@progbits,_ZN9rocsparseL23extract_grab_nnz_kernelIliEEvT0_PKT_21rocsparse_index_base_Pl,comdat
.Lfunc_end5:
	.size	_ZN9rocsparseL23extract_grab_nnz_kernelIliEEvT0_PKT_21rocsparse_index_base_Pl, .Lfunc_end5-_ZN9rocsparseL23extract_grab_nnz_kernelIliEEvT0_PKT_21rocsparse_index_base_Pl
                                        ; -- End function
	.set _ZN9rocsparseL23extract_grab_nnz_kernelIliEEvT0_PKT_21rocsparse_index_base_Pl.num_vgpr, 3
	.set _ZN9rocsparseL23extract_grab_nnz_kernelIliEEvT0_PKT_21rocsparse_index_base_Pl.num_agpr, 0
	.set _ZN9rocsparseL23extract_grab_nnz_kernelIliEEvT0_PKT_21rocsparse_index_base_Pl.numbered_sgpr, 9
	.set _ZN9rocsparseL23extract_grab_nnz_kernelIliEEvT0_PKT_21rocsparse_index_base_Pl.num_named_barrier, 0
	.set _ZN9rocsparseL23extract_grab_nnz_kernelIliEEvT0_PKT_21rocsparse_index_base_Pl.private_seg_size, 0
	.set _ZN9rocsparseL23extract_grab_nnz_kernelIliEEvT0_PKT_21rocsparse_index_base_Pl.uses_vcc, 0
	.set _ZN9rocsparseL23extract_grab_nnz_kernelIliEEvT0_PKT_21rocsparse_index_base_Pl.uses_flat_scratch, 0
	.set _ZN9rocsparseL23extract_grab_nnz_kernelIliEEvT0_PKT_21rocsparse_index_base_Pl.has_dyn_sized_stack, 0
	.set _ZN9rocsparseL23extract_grab_nnz_kernelIliEEvT0_PKT_21rocsparse_index_base_Pl.has_recursion, 0
	.set _ZN9rocsparseL23extract_grab_nnz_kernelIliEEvT0_PKT_21rocsparse_index_base_Pl.has_indirect_call, 0
	.section	.AMDGPU.csdata,"",@progbits
; Kernel info:
; codeLenInByte = 96
; TotalNumSgprs: 13
; NumVgprs: 3
; ScratchSize: 0
; MemoryBound: 0
; FloatMode: 240
; IeeeMode: 1
; LDSByteSize: 0 bytes/workgroup (compile time only)
; SGPRBlocks: 1
; VGPRBlocks: 0
; NumSGPRsForWavesPerEU: 13
; NumVGPRsForWavesPerEU: 3
; Occupancy: 10
; WaveLimiterHint : 0
; COMPUTE_PGM_RSRC2:SCRATCH_EN: 0
; COMPUTE_PGM_RSRC2:USER_SGPR: 6
; COMPUTE_PGM_RSRC2:TRAP_HANDLER: 0
; COMPUTE_PGM_RSRC2:TGID_X_EN: 1
; COMPUTE_PGM_RSRC2:TGID_Y_EN: 0
; COMPUTE_PGM_RSRC2:TGID_Z_EN: 0
; COMPUTE_PGM_RSRC2:TIDIG_COMP_CNT: 0
	.section	.text._ZN9rocsparseL20extract_count_kernelILj1024EllEEvT1_PKT0_PKS1_21rocsparse_index_base_b20rocsparse_diag_type_PS2_,"axG",@progbits,_ZN9rocsparseL20extract_count_kernelILj1024EllEEvT1_PKT0_PKS1_21rocsparse_index_base_b20rocsparse_diag_type_PS2_,comdat
	.globl	_ZN9rocsparseL20extract_count_kernelILj1024EllEEvT1_PKT0_PKS1_21rocsparse_index_base_b20rocsparse_diag_type_PS2_ ; -- Begin function _ZN9rocsparseL20extract_count_kernelILj1024EllEEvT1_PKT0_PKS1_21rocsparse_index_base_b20rocsparse_diag_type_PS2_
	.p2align	8
	.type	_ZN9rocsparseL20extract_count_kernelILj1024EllEEvT1_PKT0_PKS1_21rocsparse_index_base_b20rocsparse_diag_type_PS2_,@function
_ZN9rocsparseL20extract_count_kernelILj1024EllEEvT1_PKT0_PKS1_21rocsparse_index_base_b20rocsparse_diag_type_PS2_: ; @_ZN9rocsparseL20extract_count_kernelILj1024EllEEvT1_PKT0_PKS1_21rocsparse_index_base_b20rocsparse_diag_type_PS2_
; %bb.0:
	s_load_dword s2, s[4:5], 0x3c
	s_load_dwordx2 s[0:1], s[4:5], 0x0
	v_mov_b32_e32 v5, 0
	s_waitcnt lgkmcnt(0)
	s_and_b32 s2, s2, 0xffff
	s_mul_i32 s6, s6, s2
	v_add_u32_e32 v4, s6, v0
	v_cmp_gt_i64_e32 vcc, s[0:1], v[4:5]
	s_and_saveexec_b64 s[0:1], vcc
	s_cbranch_execz .LBB6_17
; %bb.1:
	s_load_dwordx2 s[0:1], s[4:5], 0x8
	s_load_dwordx2 s[2:3], s[4:5], 0x28
	v_lshlrev_b64 v[6:7], 3, v[4:5]
	v_mov_b32_e32 v8, 0
	v_mov_b32_e32 v9, 0
	s_waitcnt lgkmcnt(0)
	v_mov_b32_e32 v1, s1
	v_add_co_u32_e32 v0, vcc, s0, v6
	v_addc_co_u32_e32 v1, vcc, v1, v7, vcc
	global_load_dwordx4 v[0:3], v[0:1], off
	s_waitcnt vmcnt(0)
	v_cmp_lt_i64_e32 vcc, v[0:1], v[2:3]
	s_and_saveexec_b64 s[6:7], vcc
	s_cbranch_execz .LBB6_16
; %bb.2:
	s_load_dwordx4 s[12:15], s[4:5], 0x18
	s_load_dwordx2 s[0:1], s[4:5], 0x10
	s_mov_b32 s5, 0
	s_waitcnt lgkmcnt(0)
	v_subrev_co_u32_e32 v2, vcc, s12, v2
	s_bitcmp1_b32 s13, 0
	v_subbrev_co_u32_e32 v3, vcc, 0, v3, vcc
	s_cselect_b64 s[8:9], -1, 0
	s_xor_b64 s[8:9], s[8:9], -1
	v_subrev_co_u32_e32 v10, vcc, s12, v0
	s_mov_b32 s4, s12
	v_subbrev_co_u32_e32 v11, vcc, 0, v1, vcc
	s_cmp_lg_u32 s14, 1
	v_lshlrev_b64 v[0:1], 3, v[0:1]
	s_cselect_b64 s[10:11], -1, 0
	s_lshl_b64 s[12:13], s[4:5], 3
	v_mov_b32_e32 v8, s13
	v_subrev_co_u32_e32 v0, vcc, s12, v0
	v_subb_co_u32_e32 v1, vcc, v1, v8, vcc
	v_mov_b32_e32 v8, s1
	v_add_co_u32_e32 v0, vcc, s0, v0
	v_addc_co_u32_e32 v1, vcc, v8, v1, vcc
	v_mov_b32_e32 v8, 0
	v_mov_b32_e32 v9, 0
	s_mov_b64 s[12:13], 0
	s_branch .LBB6_4
.LBB6_3:                                ;   in Loop: Header=BB6_4 Depth=1
	v_add_co_u32_e32 v10, vcc, 1, v10
	v_addc_co_u32_e32 v11, vcc, 0, v11, vcc
	v_cmp_ge_i64_e32 vcc, v[10:11], v[2:3]
	v_cndmask_b32_e64 v12, 0, 1, s[14:15]
	v_add_co_u32_e64 v8, s[0:1], v8, v12
	s_or_b64 s[12:13], vcc, s[12:13]
	v_add_co_u32_e32 v0, vcc, 8, v0
	v_addc_co_u32_e64 v9, s[0:1], 0, v9, s[0:1]
	v_addc_co_u32_e32 v1, vcc, 0, v1, vcc
	s_andn2_b64 exec, exec, s[12:13]
	s_cbranch_execz .LBB6_15
.LBB6_4:                                ; =>This Inner Loop Header: Depth=1
	global_load_dwordx2 v[12:13], v[0:1], off
	s_and_b64 vcc, exec, s[8:9]
	s_mov_b64 s[16:17], -1
                                        ; implicit-def: $sgpr14_sgpr15
	s_waitcnt vmcnt(0)
	v_subrev_co_u32_e64 v12, s[0:1], s4, v12
	v_subbrev_co_u32_e64 v13, s[0:1], 0, v13, s[0:1]
	s_cbranch_vccz .LBB6_10
; %bb.5:                                ;   in Loop: Header=BB6_4 Depth=1
	s_mov_b64 s[0:1], -1
	s_and_b64 vcc, exec, s[10:11]
                                        ; implicit-def: $sgpr14_sgpr15
	s_cbranch_vccz .LBB6_7
; %bb.6:                                ;   in Loop: Header=BB6_4 Depth=1
	v_cmp_ge_i64_e64 s[14:15], v[12:13], v[4:5]
	s_mov_b64 s[0:1], 0
.LBB6_7:                                ;   in Loop: Header=BB6_4 Depth=1
	s_andn2_b64 vcc, exec, s[0:1]
	s_cbranch_vccnz .LBB6_9
; %bb.8:                                ;   in Loop: Header=BB6_4 Depth=1
	v_cmp_gt_i64_e32 vcc, v[12:13], v[4:5]
	s_andn2_b64 s[0:1], s[14:15], exec
	s_and_b64 s[14:15], vcc, exec
	s_or_b64 s[14:15], s[0:1], s[14:15]
.LBB6_9:                                ;   in Loop: Header=BB6_4 Depth=1
	s_mov_b64 s[16:17], 0
.LBB6_10:                               ;   in Loop: Header=BB6_4 Depth=1
	s_andn2_b64 vcc, exec, s[16:17]
	s_cbranch_vccnz .LBB6_3
; %bb.11:                               ;   in Loop: Header=BB6_4 Depth=1
	s_mov_b64 s[0:1], -1
	s_and_b64 vcc, exec, s[10:11]
                                        ; implicit-def: $sgpr14_sgpr15
	s_cbranch_vccz .LBB6_13
; %bb.12:                               ;   in Loop: Header=BB6_4 Depth=1
	v_cmp_le_i64_e64 s[14:15], v[12:13], v[4:5]
	s_mov_b64 s[0:1], 0
.LBB6_13:                               ;   in Loop: Header=BB6_4 Depth=1
	s_andn2_b64 vcc, exec, s[0:1]
	s_cbranch_vccnz .LBB6_3
; %bb.14:                               ;   in Loop: Header=BB6_4 Depth=1
	v_cmp_lt_i64_e32 vcc, v[12:13], v[4:5]
	s_andn2_b64 s[0:1], s[14:15], exec
	s_and_b64 s[14:15], vcc, exec
	s_or_b64 s[14:15], s[0:1], s[14:15]
	s_branch .LBB6_3
.LBB6_15:
	s_or_b64 exec, exec, s[12:13]
.LBB6_16:
	s_or_b64 exec, exec, s[6:7]
	v_mov_b32_e32 v1, s3
	v_add_co_u32_e32 v0, vcc, s2, v6
	v_addc_co_u32_e32 v1, vcc, v1, v7, vcc
	global_store_dwordx2 v[0:1], v[8:9], off offset:8
.LBB6_17:
	s_endpgm
	.section	.rodata,"a",@progbits
	.p2align	6, 0x0
	.amdhsa_kernel _ZN9rocsparseL20extract_count_kernelILj1024EllEEvT1_PKT0_PKS1_21rocsparse_index_base_b20rocsparse_diag_type_PS2_
		.amdhsa_group_segment_fixed_size 0
		.amdhsa_private_segment_fixed_size 0
		.amdhsa_kernarg_size 304
		.amdhsa_user_sgpr_count 6
		.amdhsa_user_sgpr_private_segment_buffer 1
		.amdhsa_user_sgpr_dispatch_ptr 0
		.amdhsa_user_sgpr_queue_ptr 0
		.amdhsa_user_sgpr_kernarg_segment_ptr 1
		.amdhsa_user_sgpr_dispatch_id 0
		.amdhsa_user_sgpr_flat_scratch_init 0
		.amdhsa_user_sgpr_private_segment_size 0
		.amdhsa_uses_dynamic_stack 0
		.amdhsa_system_sgpr_private_segment_wavefront_offset 0
		.amdhsa_system_sgpr_workgroup_id_x 1
		.amdhsa_system_sgpr_workgroup_id_y 0
		.amdhsa_system_sgpr_workgroup_id_z 0
		.amdhsa_system_sgpr_workgroup_info 0
		.amdhsa_system_vgpr_workitem_id 0
		.amdhsa_next_free_vgpr 14
		.amdhsa_next_free_sgpr 18
		.amdhsa_reserve_vcc 1
		.amdhsa_reserve_flat_scratch 0
		.amdhsa_float_round_mode_32 0
		.amdhsa_float_round_mode_16_64 0
		.amdhsa_float_denorm_mode_32 3
		.amdhsa_float_denorm_mode_16_64 3
		.amdhsa_dx10_clamp 1
		.amdhsa_ieee_mode 1
		.amdhsa_fp16_overflow 0
		.amdhsa_exception_fp_ieee_invalid_op 0
		.amdhsa_exception_fp_denorm_src 0
		.amdhsa_exception_fp_ieee_div_zero 0
		.amdhsa_exception_fp_ieee_overflow 0
		.amdhsa_exception_fp_ieee_underflow 0
		.amdhsa_exception_fp_ieee_inexact 0
		.amdhsa_exception_int_div_zero 0
	.end_amdhsa_kernel
	.section	.text._ZN9rocsparseL20extract_count_kernelILj1024EllEEvT1_PKT0_PKS1_21rocsparse_index_base_b20rocsparse_diag_type_PS2_,"axG",@progbits,_ZN9rocsparseL20extract_count_kernelILj1024EllEEvT1_PKT0_PKS1_21rocsparse_index_base_b20rocsparse_diag_type_PS2_,comdat
.Lfunc_end6:
	.size	_ZN9rocsparseL20extract_count_kernelILj1024EllEEvT1_PKT0_PKS1_21rocsparse_index_base_b20rocsparse_diag_type_PS2_, .Lfunc_end6-_ZN9rocsparseL20extract_count_kernelILj1024EllEEvT1_PKT0_PKS1_21rocsparse_index_base_b20rocsparse_diag_type_PS2_
                                        ; -- End function
	.set _ZN9rocsparseL20extract_count_kernelILj1024EllEEvT1_PKT0_PKS1_21rocsparse_index_base_b20rocsparse_diag_type_PS2_.num_vgpr, 14
	.set _ZN9rocsparseL20extract_count_kernelILj1024EllEEvT1_PKT0_PKS1_21rocsparse_index_base_b20rocsparse_diag_type_PS2_.num_agpr, 0
	.set _ZN9rocsparseL20extract_count_kernelILj1024EllEEvT1_PKT0_PKS1_21rocsparse_index_base_b20rocsparse_diag_type_PS2_.numbered_sgpr, 18
	.set _ZN9rocsparseL20extract_count_kernelILj1024EllEEvT1_PKT0_PKS1_21rocsparse_index_base_b20rocsparse_diag_type_PS2_.num_named_barrier, 0
	.set _ZN9rocsparseL20extract_count_kernelILj1024EllEEvT1_PKT0_PKS1_21rocsparse_index_base_b20rocsparse_diag_type_PS2_.private_seg_size, 0
	.set _ZN9rocsparseL20extract_count_kernelILj1024EllEEvT1_PKT0_PKS1_21rocsparse_index_base_b20rocsparse_diag_type_PS2_.uses_vcc, 1
	.set _ZN9rocsparseL20extract_count_kernelILj1024EllEEvT1_PKT0_PKS1_21rocsparse_index_base_b20rocsparse_diag_type_PS2_.uses_flat_scratch, 0
	.set _ZN9rocsparseL20extract_count_kernelILj1024EllEEvT1_PKT0_PKS1_21rocsparse_index_base_b20rocsparse_diag_type_PS2_.has_dyn_sized_stack, 0
	.set _ZN9rocsparseL20extract_count_kernelILj1024EllEEvT1_PKT0_PKS1_21rocsparse_index_base_b20rocsparse_diag_type_PS2_.has_recursion, 0
	.set _ZN9rocsparseL20extract_count_kernelILj1024EllEEvT1_PKT0_PKS1_21rocsparse_index_base_b20rocsparse_diag_type_PS2_.has_indirect_call, 0
	.section	.AMDGPU.csdata,"",@progbits
; Kernel info:
; codeLenInByte = 480
; TotalNumSgprs: 22
; NumVgprs: 14
; ScratchSize: 0
; MemoryBound: 0
; FloatMode: 240
; IeeeMode: 1
; LDSByteSize: 0 bytes/workgroup (compile time only)
; SGPRBlocks: 2
; VGPRBlocks: 3
; NumSGPRsForWavesPerEU: 22
; NumVGPRsForWavesPerEU: 14
; Occupancy: 10
; WaveLimiterHint : 0
; COMPUTE_PGM_RSRC2:SCRATCH_EN: 0
; COMPUTE_PGM_RSRC2:USER_SGPR: 6
; COMPUTE_PGM_RSRC2:TRAP_HANDLER: 0
; COMPUTE_PGM_RSRC2:TGID_X_EN: 1
; COMPUTE_PGM_RSRC2:TGID_Y_EN: 0
; COMPUTE_PGM_RSRC2:TGID_Z_EN: 0
; COMPUTE_PGM_RSRC2:TIDIG_COMP_CNT: 0
	.section	.text._ZN9rocsparseL23extract_grab_nnz_kernelIllEEvT0_PKT_21rocsparse_index_base_Pl,"axG",@progbits,_ZN9rocsparseL23extract_grab_nnz_kernelIllEEvT0_PKT_21rocsparse_index_base_Pl,comdat
	.globl	_ZN9rocsparseL23extract_grab_nnz_kernelIllEEvT0_PKT_21rocsparse_index_base_Pl ; -- Begin function _ZN9rocsparseL23extract_grab_nnz_kernelIllEEvT0_PKT_21rocsparse_index_base_Pl
	.p2align	8
	.type	_ZN9rocsparseL23extract_grab_nnz_kernelIllEEvT0_PKT_21rocsparse_index_base_Pl,@function
_ZN9rocsparseL23extract_grab_nnz_kernelIllEEvT0_PKT_21rocsparse_index_base_Pl: ; @_ZN9rocsparseL23extract_grab_nnz_kernelIllEEvT0_PKT_21rocsparse_index_base_Pl
; %bb.0:
	s_load_dwordx4 s[0:3], s[4:5], 0x0
	s_load_dword s8, s[4:5], 0x10
	v_mov_b32_e32 v2, 0
	s_waitcnt lgkmcnt(0)
	s_lshl_b64 s[0:1], s[0:1], 3
	s_add_u32 s0, s2, s0
	s_addc_u32 s1, s3, s1
	s_load_dwordx2 s[2:3], s[0:1], 0x0
	s_load_dwordx2 s[6:7], s[4:5], 0x18
	s_waitcnt lgkmcnt(0)
	s_sub_u32 s0, s2, s8
	s_subb_u32 s1, s3, 0
	v_mov_b32_e32 v0, s0
	v_mov_b32_e32 v1, s1
	global_store_dwordx2 v2, v[0:1], s[6:7]
	s_endpgm
	.section	.rodata,"a",@progbits
	.p2align	6, 0x0
	.amdhsa_kernel _ZN9rocsparseL23extract_grab_nnz_kernelIllEEvT0_PKT_21rocsparse_index_base_Pl
		.amdhsa_group_segment_fixed_size 0
		.amdhsa_private_segment_fixed_size 0
		.amdhsa_kernarg_size 32
		.amdhsa_user_sgpr_count 6
		.amdhsa_user_sgpr_private_segment_buffer 1
		.amdhsa_user_sgpr_dispatch_ptr 0
		.amdhsa_user_sgpr_queue_ptr 0
		.amdhsa_user_sgpr_kernarg_segment_ptr 1
		.amdhsa_user_sgpr_dispatch_id 0
		.amdhsa_user_sgpr_flat_scratch_init 0
		.amdhsa_user_sgpr_private_segment_size 0
		.amdhsa_uses_dynamic_stack 0
		.amdhsa_system_sgpr_private_segment_wavefront_offset 0
		.amdhsa_system_sgpr_workgroup_id_x 1
		.amdhsa_system_sgpr_workgroup_id_y 0
		.amdhsa_system_sgpr_workgroup_id_z 0
		.amdhsa_system_sgpr_workgroup_info 0
		.amdhsa_system_vgpr_workitem_id 0
		.amdhsa_next_free_vgpr 3
		.amdhsa_next_free_sgpr 9
		.amdhsa_reserve_vcc 0
		.amdhsa_reserve_flat_scratch 0
		.amdhsa_float_round_mode_32 0
		.amdhsa_float_round_mode_16_64 0
		.amdhsa_float_denorm_mode_32 3
		.amdhsa_float_denorm_mode_16_64 3
		.amdhsa_dx10_clamp 1
		.amdhsa_ieee_mode 1
		.amdhsa_fp16_overflow 0
		.amdhsa_exception_fp_ieee_invalid_op 0
		.amdhsa_exception_fp_denorm_src 0
		.amdhsa_exception_fp_ieee_div_zero 0
		.amdhsa_exception_fp_ieee_overflow 0
		.amdhsa_exception_fp_ieee_underflow 0
		.amdhsa_exception_fp_ieee_inexact 0
		.amdhsa_exception_int_div_zero 0
	.end_amdhsa_kernel
	.section	.text._ZN9rocsparseL23extract_grab_nnz_kernelIllEEvT0_PKT_21rocsparse_index_base_Pl,"axG",@progbits,_ZN9rocsparseL23extract_grab_nnz_kernelIllEEvT0_PKT_21rocsparse_index_base_Pl,comdat
.Lfunc_end7:
	.size	_ZN9rocsparseL23extract_grab_nnz_kernelIllEEvT0_PKT_21rocsparse_index_base_Pl, .Lfunc_end7-_ZN9rocsparseL23extract_grab_nnz_kernelIllEEvT0_PKT_21rocsparse_index_base_Pl
                                        ; -- End function
	.set _ZN9rocsparseL23extract_grab_nnz_kernelIllEEvT0_PKT_21rocsparse_index_base_Pl.num_vgpr, 3
	.set _ZN9rocsparseL23extract_grab_nnz_kernelIllEEvT0_PKT_21rocsparse_index_base_Pl.num_agpr, 0
	.set _ZN9rocsparseL23extract_grab_nnz_kernelIllEEvT0_PKT_21rocsparse_index_base_Pl.numbered_sgpr, 9
	.set _ZN9rocsparseL23extract_grab_nnz_kernelIllEEvT0_PKT_21rocsparse_index_base_Pl.num_named_barrier, 0
	.set _ZN9rocsparseL23extract_grab_nnz_kernelIllEEvT0_PKT_21rocsparse_index_base_Pl.private_seg_size, 0
	.set _ZN9rocsparseL23extract_grab_nnz_kernelIllEEvT0_PKT_21rocsparse_index_base_Pl.uses_vcc, 0
	.set _ZN9rocsparseL23extract_grab_nnz_kernelIllEEvT0_PKT_21rocsparse_index_base_Pl.uses_flat_scratch, 0
	.set _ZN9rocsparseL23extract_grab_nnz_kernelIllEEvT0_PKT_21rocsparse_index_base_Pl.has_dyn_sized_stack, 0
	.set _ZN9rocsparseL23extract_grab_nnz_kernelIllEEvT0_PKT_21rocsparse_index_base_Pl.has_recursion, 0
	.set _ZN9rocsparseL23extract_grab_nnz_kernelIllEEvT0_PKT_21rocsparse_index_base_Pl.has_indirect_call, 0
	.section	.AMDGPU.csdata,"",@progbits
; Kernel info:
; codeLenInByte = 84
; TotalNumSgprs: 13
; NumVgprs: 3
; ScratchSize: 0
; MemoryBound: 1
; FloatMode: 240
; IeeeMode: 1
; LDSByteSize: 0 bytes/workgroup (compile time only)
; SGPRBlocks: 1
; VGPRBlocks: 0
; NumSGPRsForWavesPerEU: 13
; NumVGPRsForWavesPerEU: 3
; Occupancy: 10
; WaveLimiterHint : 1
; COMPUTE_PGM_RSRC2:SCRATCH_EN: 0
; COMPUTE_PGM_RSRC2:USER_SGPR: 6
; COMPUTE_PGM_RSRC2:TRAP_HANDLER: 0
; COMPUTE_PGM_RSRC2:TGID_X_EN: 1
; COMPUTE_PGM_RSRC2:TGID_Y_EN: 0
; COMPUTE_PGM_RSRC2:TGID_Z_EN: 0
; COMPUTE_PGM_RSRC2:TIDIG_COMP_CNT: 0
	.section	.text._ZN9rocsparseL28internal_extract_fill_kernelILj1024EDF16_iiEEvT2_PKT1_PKS1_PKT0_21rocsparse_index_base_b20rocsparse_diag_type_S4_PS1_PS7_SA_,"axG",@progbits,_ZN9rocsparseL28internal_extract_fill_kernelILj1024EDF16_iiEEvT2_PKT1_PKS1_PKT0_21rocsparse_index_base_b20rocsparse_diag_type_S4_PS1_PS7_SA_,comdat
	.globl	_ZN9rocsparseL28internal_extract_fill_kernelILj1024EDF16_iiEEvT2_PKT1_PKS1_PKT0_21rocsparse_index_base_b20rocsparse_diag_type_S4_PS1_PS7_SA_ ; -- Begin function _ZN9rocsparseL28internal_extract_fill_kernelILj1024EDF16_iiEEvT2_PKT1_PKS1_PKT0_21rocsparse_index_base_b20rocsparse_diag_type_S4_PS1_PS7_SA_
	.p2align	8
	.type	_ZN9rocsparseL28internal_extract_fill_kernelILj1024EDF16_iiEEvT2_PKT1_PKS1_PKT0_21rocsparse_index_base_b20rocsparse_diag_type_S4_PS1_PS7_SA_,@function
_ZN9rocsparseL28internal_extract_fill_kernelILj1024EDF16_iiEEvT2_PKT1_PKS1_PKT0_21rocsparse_index_base_b20rocsparse_diag_type_S4_PS1_PS7_SA_: ; @_ZN9rocsparseL28internal_extract_fill_kernelILj1024EDF16_iiEEvT2_PKT1_PKS1_PKT0_21rocsparse_index_base_b20rocsparse_diag_type_S4_PS1_PS7_SA_
; %bb.0:
	s_load_dword s0, s[4:5], 0x5c
	s_load_dword s1, s[4:5], 0x0
	s_waitcnt lgkmcnt(0)
	s_and_b32 s0, s0, 0xffff
	s_mul_i32 s6, s6, s0
	v_add_u32_e32 v0, s6, v0
	v_cmp_gt_i32_e32 vcc, s1, v0
	s_and_saveexec_b64 s[0:1], vcc
	s_cbranch_execz .LBB8_17
; %bb.1:
	s_load_dwordx2 s[0:1], s[4:5], 0x8
	v_ashrrev_i32_e32 v1, 31, v0
	v_lshlrev_b64 v[3:4], 2, v[0:1]
	s_waitcnt lgkmcnt(0)
	v_mov_b32_e32 v2, s1
	v_add_co_u32_e32 v1, vcc, s0, v3
	v_addc_co_u32_e32 v2, vcc, v2, v4, vcc
	global_load_dwordx2 v[1:2], v[1:2], off
	s_waitcnt vmcnt(0)
	v_cmp_lt_i32_e32 vcc, v1, v2
	s_and_b64 exec, exec, vcc
	s_cbranch_execz .LBB8_17
; %bb.2:
	s_load_dwordx4 s[0:3], s[4:5], 0x30
	s_waitcnt lgkmcnt(0)
	v_mov_b32_e32 v5, s1
	v_add_co_u32_e32 v3, vcc, s0, v3
	v_addc_co_u32_e32 v4, vcc, v5, v4, vcc
	global_load_dword v7, v[3:4], off
	s_load_dwordx8 s[8:15], s[4:5], 0x10
	s_load_dwordx2 s[0:1], s[4:5], 0x40
	s_load_dword s16, s[4:5], 0x48
	s_waitcnt lgkmcnt(0)
	v_subrev_u32_e32 v1, s12, v1
	v_subrev_u32_e32 v8, s12, v2
	v_ashrrev_i32_e32 v2, 31, v1
	v_lshlrev_b64 v[3:4], 2, v[1:2]
	s_bitcmp1_b32 s13, 0
	v_mov_b32_e32 v9, s9
	s_cselect_b64 s[4:5], -1, 0
	v_lshlrev_b64 v[5:6], 1, v[1:2]
	v_add_co_u32_e32 v2, vcc, s8, v3
	s_xor_b64 s[4:5], s[4:5], -1
	v_addc_co_u32_e32 v3, vcc, v9, v4, vcc
	v_mov_b32_e32 v10, s11
	s_cmp_lg_u32 s14, 1
	v_add_co_u32_e32 v4, vcc, s10, v5
	s_cselect_b64 s[6:7], -1, 0
	v_addc_co_u32_e32 v5, vcc, v10, v6, vcc
	s_mov_b64 s[8:9], 0
	s_waitcnt vmcnt(0)
	v_subrev_u32_e32 v6, s16, v7
	s_branch .LBB8_4
.LBB8_3:                                ;   in Loop: Header=BB8_4 Depth=1
	s_or_b64 exec, exec, s[14:15]
	v_add_co_u32_e32 v2, vcc, 4, v2
	v_add_u32_e32 v1, 1, v1
	v_addc_co_u32_e32 v3, vcc, 0, v3, vcc
	v_cmp_ge_i32_e32 vcc, v1, v8
	s_or_b64 s[8:9], vcc, s[8:9]
	v_add_co_u32_e32 v4, vcc, 2, v4
	v_addc_co_u32_e32 v5, vcc, 0, v5, vcc
	s_andn2_b64 exec, exec, s[8:9]
	s_cbranch_execz .LBB8_17
.LBB8_4:                                ; =>This Inner Loop Header: Depth=1
	global_load_dword v7, v[2:3], off
	s_and_b64 vcc, exec, s[4:5]
	s_mov_b64 s[14:15], -1
                                        ; implicit-def: $sgpr10_sgpr11
	s_waitcnt vmcnt(0)
	v_subrev_u32_e32 v9, s12, v7
	s_cbranch_vccz .LBB8_10
; %bb.5:                                ;   in Loop: Header=BB8_4 Depth=1
	s_and_b64 vcc, exec, s[6:7]
                                        ; implicit-def: $sgpr10_sgpr11
	s_cbranch_vccz .LBB8_7
; %bb.6:                                ;   in Loop: Header=BB8_4 Depth=1
	v_cmp_le_i32_e64 s[10:11], v0, v9
	s_mov_b64 s[14:15], 0
.LBB8_7:                                ;   in Loop: Header=BB8_4 Depth=1
	s_andn2_b64 vcc, exec, s[14:15]
	s_cbranch_vccnz .LBB8_9
; %bb.8:                                ;   in Loop: Header=BB8_4 Depth=1
	v_cmp_lt_i32_e32 vcc, v0, v9
	s_andn2_b64 s[10:11], s[10:11], exec
	s_and_b64 s[14:15], vcc, exec
	s_or_b64 s[10:11], s[10:11], s[14:15]
.LBB8_9:                                ;   in Loop: Header=BB8_4 Depth=1
	s_mov_b64 s[14:15], 0
.LBB8_10:                               ;   in Loop: Header=BB8_4 Depth=1
	s_andn2_b64 vcc, exec, s[14:15]
	s_cbranch_vccnz .LBB8_15
; %bb.11:                               ;   in Loop: Header=BB8_4 Depth=1
	s_mov_b64 s[14:15], -1
	s_and_b64 vcc, exec, s[6:7]
                                        ; implicit-def: $sgpr10_sgpr11
	s_cbranch_vccz .LBB8_13
; %bb.12:                               ;   in Loop: Header=BB8_4 Depth=1
	v_cmp_ge_i32_e64 s[10:11], v0, v9
	s_mov_b64 s[14:15], 0
.LBB8_13:                               ;   in Loop: Header=BB8_4 Depth=1
	s_andn2_b64 vcc, exec, s[14:15]
	s_cbranch_vccnz .LBB8_15
; %bb.14:                               ;   in Loop: Header=BB8_4 Depth=1
	v_cmp_gt_i32_e32 vcc, v0, v9
	s_andn2_b64 s[10:11], s[10:11], exec
	s_and_b64 s[14:15], vcc, exec
	s_or_b64 s[10:11], s[10:11], s[14:15]
.LBB8_15:                               ;   in Loop: Header=BB8_4 Depth=1
	s_and_saveexec_b64 s[14:15], s[10:11]
	s_cbranch_execz .LBB8_3
; %bb.16:                               ;   in Loop: Header=BB8_4 Depth=1
	global_load_ushort v11, v[4:5], off
	v_ashrrev_i32_e32 v7, 31, v6
	v_add_u32_e32 v15, s16, v9
	v_lshlrev_b64 v[9:10], 1, v[6:7]
	v_add_u32_e32 v12, 1, v6
	v_mov_b32_e32 v13, s1
	v_lshlrev_b64 v[6:7], 2, v[6:7]
	v_add_co_u32_e32 v9, vcc, s0, v9
	v_addc_co_u32_e32 v10, vcc, v13, v10, vcc
	v_mov_b32_e32 v14, s3
	v_add_co_u32_e32 v6, vcc, s2, v6
	v_addc_co_u32_e32 v7, vcc, v14, v7, vcc
	global_store_dword v[6:7], v15, off
	s_waitcnt vmcnt(1)
	global_store_short v[9:10], v11, off
	v_mov_b32_e32 v6, v12
	s_branch .LBB8_3
.LBB8_17:
	s_endpgm
	.section	.rodata,"a",@progbits
	.p2align	6, 0x0
	.amdhsa_kernel _ZN9rocsparseL28internal_extract_fill_kernelILj1024EDF16_iiEEvT2_PKT1_PKS1_PKT0_21rocsparse_index_base_b20rocsparse_diag_type_S4_PS1_PS7_SA_
		.amdhsa_group_segment_fixed_size 0
		.amdhsa_private_segment_fixed_size 0
		.amdhsa_kernarg_size 336
		.amdhsa_user_sgpr_count 6
		.amdhsa_user_sgpr_private_segment_buffer 1
		.amdhsa_user_sgpr_dispatch_ptr 0
		.amdhsa_user_sgpr_queue_ptr 0
		.amdhsa_user_sgpr_kernarg_segment_ptr 1
		.amdhsa_user_sgpr_dispatch_id 0
		.amdhsa_user_sgpr_flat_scratch_init 0
		.amdhsa_user_sgpr_private_segment_size 0
		.amdhsa_uses_dynamic_stack 0
		.amdhsa_system_sgpr_private_segment_wavefront_offset 0
		.amdhsa_system_sgpr_workgroup_id_x 1
		.amdhsa_system_sgpr_workgroup_id_y 0
		.amdhsa_system_sgpr_workgroup_id_z 0
		.amdhsa_system_sgpr_workgroup_info 0
		.amdhsa_system_vgpr_workitem_id 0
		.amdhsa_next_free_vgpr 16
		.amdhsa_next_free_sgpr 17
		.amdhsa_reserve_vcc 1
		.amdhsa_reserve_flat_scratch 0
		.amdhsa_float_round_mode_32 0
		.amdhsa_float_round_mode_16_64 0
		.amdhsa_float_denorm_mode_32 3
		.amdhsa_float_denorm_mode_16_64 3
		.amdhsa_dx10_clamp 1
		.amdhsa_ieee_mode 1
		.amdhsa_fp16_overflow 0
		.amdhsa_exception_fp_ieee_invalid_op 0
		.amdhsa_exception_fp_denorm_src 0
		.amdhsa_exception_fp_ieee_div_zero 0
		.amdhsa_exception_fp_ieee_overflow 0
		.amdhsa_exception_fp_ieee_underflow 0
		.amdhsa_exception_fp_ieee_inexact 0
		.amdhsa_exception_int_div_zero 0
	.end_amdhsa_kernel
	.section	.text._ZN9rocsparseL28internal_extract_fill_kernelILj1024EDF16_iiEEvT2_PKT1_PKS1_PKT0_21rocsparse_index_base_b20rocsparse_diag_type_S4_PS1_PS7_SA_,"axG",@progbits,_ZN9rocsparseL28internal_extract_fill_kernelILj1024EDF16_iiEEvT2_PKT1_PKS1_PKT0_21rocsparse_index_base_b20rocsparse_diag_type_S4_PS1_PS7_SA_,comdat
.Lfunc_end8:
	.size	_ZN9rocsparseL28internal_extract_fill_kernelILj1024EDF16_iiEEvT2_PKT1_PKS1_PKT0_21rocsparse_index_base_b20rocsparse_diag_type_S4_PS1_PS7_SA_, .Lfunc_end8-_ZN9rocsparseL28internal_extract_fill_kernelILj1024EDF16_iiEEvT2_PKT1_PKS1_PKT0_21rocsparse_index_base_b20rocsparse_diag_type_S4_PS1_PS7_SA_
                                        ; -- End function
	.set _ZN9rocsparseL28internal_extract_fill_kernelILj1024EDF16_iiEEvT2_PKT1_PKS1_PKT0_21rocsparse_index_base_b20rocsparse_diag_type_S4_PS1_PS7_SA_.num_vgpr, 16
	.set _ZN9rocsparseL28internal_extract_fill_kernelILj1024EDF16_iiEEvT2_PKT1_PKS1_PKT0_21rocsparse_index_base_b20rocsparse_diag_type_S4_PS1_PS7_SA_.num_agpr, 0
	.set _ZN9rocsparseL28internal_extract_fill_kernelILj1024EDF16_iiEEvT2_PKT1_PKS1_PKT0_21rocsparse_index_base_b20rocsparse_diag_type_S4_PS1_PS7_SA_.numbered_sgpr, 17
	.set _ZN9rocsparseL28internal_extract_fill_kernelILj1024EDF16_iiEEvT2_PKT1_PKS1_PKT0_21rocsparse_index_base_b20rocsparse_diag_type_S4_PS1_PS7_SA_.num_named_barrier, 0
	.set _ZN9rocsparseL28internal_extract_fill_kernelILj1024EDF16_iiEEvT2_PKT1_PKS1_PKT0_21rocsparse_index_base_b20rocsparse_diag_type_S4_PS1_PS7_SA_.private_seg_size, 0
	.set _ZN9rocsparseL28internal_extract_fill_kernelILj1024EDF16_iiEEvT2_PKT1_PKS1_PKT0_21rocsparse_index_base_b20rocsparse_diag_type_S4_PS1_PS7_SA_.uses_vcc, 1
	.set _ZN9rocsparseL28internal_extract_fill_kernelILj1024EDF16_iiEEvT2_PKT1_PKS1_PKT0_21rocsparse_index_base_b20rocsparse_diag_type_S4_PS1_PS7_SA_.uses_flat_scratch, 0
	.set _ZN9rocsparseL28internal_extract_fill_kernelILj1024EDF16_iiEEvT2_PKT1_PKS1_PKT0_21rocsparse_index_base_b20rocsparse_diag_type_S4_PS1_PS7_SA_.has_dyn_sized_stack, 0
	.set _ZN9rocsparseL28internal_extract_fill_kernelILj1024EDF16_iiEEvT2_PKT1_PKS1_PKT0_21rocsparse_index_base_b20rocsparse_diag_type_S4_PS1_PS7_SA_.has_recursion, 0
	.set _ZN9rocsparseL28internal_extract_fill_kernelILj1024EDF16_iiEEvT2_PKT1_PKS1_PKT0_21rocsparse_index_base_b20rocsparse_diag_type_S4_PS1_PS7_SA_.has_indirect_call, 0
	.section	.AMDGPU.csdata,"",@progbits
; Kernel info:
; codeLenInByte = 528
; TotalNumSgprs: 21
; NumVgprs: 16
; ScratchSize: 0
; MemoryBound: 0
; FloatMode: 240
; IeeeMode: 1
; LDSByteSize: 0 bytes/workgroup (compile time only)
; SGPRBlocks: 2
; VGPRBlocks: 3
; NumSGPRsForWavesPerEU: 21
; NumVGPRsForWavesPerEU: 16
; Occupancy: 10
; WaveLimiterHint : 0
; COMPUTE_PGM_RSRC2:SCRATCH_EN: 0
; COMPUTE_PGM_RSRC2:USER_SGPR: 6
; COMPUTE_PGM_RSRC2:TRAP_HANDLER: 0
; COMPUTE_PGM_RSRC2:TGID_X_EN: 1
; COMPUTE_PGM_RSRC2:TGID_Y_EN: 0
; COMPUTE_PGM_RSRC2:TGID_Z_EN: 0
; COMPUTE_PGM_RSRC2:TIDIG_COMP_CNT: 0
	.section	.text._ZN9rocsparseL28internal_extract_fill_kernelILj1024EDF16_ilEEvT2_PKT1_PKS1_PKT0_21rocsparse_index_base_b20rocsparse_diag_type_S4_PS1_PS7_SA_,"axG",@progbits,_ZN9rocsparseL28internal_extract_fill_kernelILj1024EDF16_ilEEvT2_PKT1_PKS1_PKT0_21rocsparse_index_base_b20rocsparse_diag_type_S4_PS1_PS7_SA_,comdat
	.globl	_ZN9rocsparseL28internal_extract_fill_kernelILj1024EDF16_ilEEvT2_PKT1_PKS1_PKT0_21rocsparse_index_base_b20rocsparse_diag_type_S4_PS1_PS7_SA_ ; -- Begin function _ZN9rocsparseL28internal_extract_fill_kernelILj1024EDF16_ilEEvT2_PKT1_PKS1_PKT0_21rocsparse_index_base_b20rocsparse_diag_type_S4_PS1_PS7_SA_
	.p2align	8
	.type	_ZN9rocsparseL28internal_extract_fill_kernelILj1024EDF16_ilEEvT2_PKT1_PKS1_PKT0_21rocsparse_index_base_b20rocsparse_diag_type_S4_PS1_PS7_SA_,@function
_ZN9rocsparseL28internal_extract_fill_kernelILj1024EDF16_ilEEvT2_PKT1_PKS1_PKT0_21rocsparse_index_base_b20rocsparse_diag_type_S4_PS1_PS7_SA_: ; @_ZN9rocsparseL28internal_extract_fill_kernelILj1024EDF16_ilEEvT2_PKT1_PKS1_PKT0_21rocsparse_index_base_b20rocsparse_diag_type_S4_PS1_PS7_SA_
; %bb.0:
	s_load_dword s2, s[4:5], 0x5c
	s_load_dwordx2 s[0:1], s[4:5], 0x0
	s_waitcnt lgkmcnt(0)
	s_and_b32 s2, s2, 0xffff
	s_mul_i32 s6, s6, s2
	v_add_u32_e32 v0, s6, v0
	v_ashrrev_i32_e32 v1, 31, v0
	v_cmp_gt_i64_e32 vcc, s[0:1], v[0:1]
	s_and_saveexec_b64 s[0:1], vcc
	s_cbranch_execz .LBB9_17
; %bb.1:
	s_load_dwordx2 s[0:1], s[4:5], 0x8
	v_lshlrev_b64 v[4:5], 2, v[0:1]
	s_waitcnt lgkmcnt(0)
	v_mov_b32_e32 v3, s1
	v_add_co_u32_e32 v2, vcc, s0, v4
	v_addc_co_u32_e32 v3, vcc, v3, v5, vcc
	global_load_dwordx2 v[2:3], v[2:3], off
	s_waitcnt vmcnt(0)
	v_cmp_lt_i32_e32 vcc, v2, v3
	s_and_b64 exec, exec, vcc
	s_cbranch_execz .LBB9_17
; %bb.2:
	s_load_dwordx4 s[0:3], s[4:5], 0x30
	s_waitcnt lgkmcnt(0)
	v_mov_b32_e32 v6, s1
	v_add_co_u32_e32 v4, vcc, s0, v4
	v_addc_co_u32_e32 v5, vcc, v6, v5, vcc
	global_load_dword v8, v[4:5], off
	s_load_dwordx8 s[8:15], s[4:5], 0x10
	s_load_dwordx2 s[6:7], s[4:5], 0x40
	s_load_dword s18, s[4:5], 0x48
	s_waitcnt lgkmcnt(0)
	v_subrev_u32_e32 v2, s12, v2
	v_subrev_u32_e32 v11, s12, v3
	v_ashrrev_i32_e32 v3, 31, v2
	v_lshlrev_b64 v[4:5], 3, v[2:3]
	s_bitcmp1_b32 s13, 0
	v_mov_b32_e32 v9, s9
	s_cselect_b64 s[0:1], -1, 0
	v_lshlrev_b64 v[6:7], 1, v[2:3]
	v_add_co_u32_e32 v3, vcc, s8, v4
	s_xor_b64 s[4:5], s[0:1], -1
	v_addc_co_u32_e32 v4, vcc, v9, v5, vcc
	v_mov_b32_e32 v10, s11
	s_cmp_lg_u32 s14, 1
	v_add_co_u32_e32 v5, vcc, s10, v6
	s_cselect_b64 s[14:15], -1, 0
	v_addc_co_u32_e32 v6, vcc, v10, v7, vcc
	s_mov_b64 s[8:9], 0
	s_waitcnt vmcnt(0)
	v_subrev_u32_e32 v7, s18, v8
	s_branch .LBB9_4
.LBB9_3:                                ;   in Loop: Header=BB9_4 Depth=1
	s_or_b64 exec, exec, s[0:1]
	v_add_co_u32_e32 v3, vcc, 8, v3
	v_add_u32_e32 v2, 1, v2
	v_addc_co_u32_e32 v4, vcc, 0, v4, vcc
	v_cmp_ge_i32_e32 vcc, v2, v11
	s_or_b64 s[8:9], vcc, s[8:9]
	v_add_co_u32_e32 v5, vcc, 2, v5
	v_addc_co_u32_e32 v6, vcc, 0, v6, vcc
	s_andn2_b64 exec, exec, s[8:9]
	s_cbranch_execz .LBB9_17
.LBB9_4:                                ; =>This Inner Loop Header: Depth=1
	global_load_dwordx2 v[9:10], v[3:4], off
	s_and_b64 vcc, exec, s[4:5]
	s_mov_b64 s[16:17], -1
                                        ; implicit-def: $sgpr10_sgpr11
	s_waitcnt vmcnt(0)
	v_subrev_co_u32_e64 v9, s[0:1], s12, v9
	v_subbrev_co_u32_e64 v10, s[0:1], 0, v10, s[0:1]
	s_cbranch_vccz .LBB9_10
; %bb.5:                                ;   in Loop: Header=BB9_4 Depth=1
	s_mov_b64 s[0:1], -1
	s_and_b64 vcc, exec, s[14:15]
                                        ; implicit-def: $sgpr10_sgpr11
	s_cbranch_vccz .LBB9_7
; %bb.6:                                ;   in Loop: Header=BB9_4 Depth=1
	v_cmp_ge_i64_e64 s[10:11], v[9:10], v[0:1]
	s_mov_b64 s[0:1], 0
.LBB9_7:                                ;   in Loop: Header=BB9_4 Depth=1
	s_andn2_b64 vcc, exec, s[0:1]
	s_cbranch_vccnz .LBB9_9
; %bb.8:                                ;   in Loop: Header=BB9_4 Depth=1
	v_cmp_gt_i64_e32 vcc, v[9:10], v[0:1]
	s_andn2_b64 s[0:1], s[10:11], exec
	s_and_b64 s[10:11], vcc, exec
	s_or_b64 s[10:11], s[0:1], s[10:11]
.LBB9_9:                                ;   in Loop: Header=BB9_4 Depth=1
	s_mov_b64 s[16:17], 0
.LBB9_10:                               ;   in Loop: Header=BB9_4 Depth=1
	s_andn2_b64 vcc, exec, s[16:17]
	s_cbranch_vccnz .LBB9_15
; %bb.11:                               ;   in Loop: Header=BB9_4 Depth=1
	s_mov_b64 s[0:1], -1
	s_and_b64 vcc, exec, s[14:15]
                                        ; implicit-def: $sgpr10_sgpr11
	s_cbranch_vccz .LBB9_13
; %bb.12:                               ;   in Loop: Header=BB9_4 Depth=1
	v_cmp_le_i64_e64 s[10:11], v[9:10], v[0:1]
	s_mov_b64 s[0:1], 0
.LBB9_13:                               ;   in Loop: Header=BB9_4 Depth=1
	s_andn2_b64 vcc, exec, s[0:1]
	s_cbranch_vccnz .LBB9_15
; %bb.14:                               ;   in Loop: Header=BB9_4 Depth=1
	v_cmp_lt_i64_e32 vcc, v[9:10], v[0:1]
	s_andn2_b64 s[0:1], s[10:11], exec
	s_and_b64 s[10:11], vcc, exec
	s_or_b64 s[10:11], s[0:1], s[10:11]
.LBB9_15:                               ;   in Loop: Header=BB9_4 Depth=1
	s_and_saveexec_b64 s[0:1], s[10:11]
	s_cbranch_execz .LBB9_3
; %bb.16:                               ;   in Loop: Header=BB9_4 Depth=1
	global_load_ushort v14, v[5:6], off
	v_ashrrev_i32_e32 v8, 31, v7
	v_add_co_u32_e32 v9, vcc, s18, v9
	v_lshlrev_b64 v[12:13], 1, v[7:8]
	v_addc_co_u32_e32 v10, vcc, 0, v10, vcc
	v_add_u32_e32 v15, 1, v7
	v_mov_b32_e32 v16, s7
	v_lshlrev_b64 v[7:8], 3, v[7:8]
	v_add_co_u32_e32 v12, vcc, s6, v12
	v_addc_co_u32_e32 v13, vcc, v16, v13, vcc
	v_mov_b32_e32 v17, s3
	v_add_co_u32_e32 v7, vcc, s2, v7
	v_addc_co_u32_e32 v8, vcc, v17, v8, vcc
	global_store_dwordx2 v[7:8], v[9:10], off
	s_waitcnt vmcnt(1)
	global_store_short v[12:13], v14, off
	v_mov_b32_e32 v7, v15
	s_branch .LBB9_3
.LBB9_17:
	s_endpgm
	.section	.rodata,"a",@progbits
	.p2align	6, 0x0
	.amdhsa_kernel _ZN9rocsparseL28internal_extract_fill_kernelILj1024EDF16_ilEEvT2_PKT1_PKS1_PKT0_21rocsparse_index_base_b20rocsparse_diag_type_S4_PS1_PS7_SA_
		.amdhsa_group_segment_fixed_size 0
		.amdhsa_private_segment_fixed_size 0
		.amdhsa_kernarg_size 336
		.amdhsa_user_sgpr_count 6
		.amdhsa_user_sgpr_private_segment_buffer 1
		.amdhsa_user_sgpr_dispatch_ptr 0
		.amdhsa_user_sgpr_queue_ptr 0
		.amdhsa_user_sgpr_kernarg_segment_ptr 1
		.amdhsa_user_sgpr_dispatch_id 0
		.amdhsa_user_sgpr_flat_scratch_init 0
		.amdhsa_user_sgpr_private_segment_size 0
		.amdhsa_uses_dynamic_stack 0
		.amdhsa_system_sgpr_private_segment_wavefront_offset 0
		.amdhsa_system_sgpr_workgroup_id_x 1
		.amdhsa_system_sgpr_workgroup_id_y 0
		.amdhsa_system_sgpr_workgroup_id_z 0
		.amdhsa_system_sgpr_workgroup_info 0
		.amdhsa_system_vgpr_workitem_id 0
		.amdhsa_next_free_vgpr 18
		.amdhsa_next_free_sgpr 19
		.amdhsa_reserve_vcc 1
		.amdhsa_reserve_flat_scratch 0
		.amdhsa_float_round_mode_32 0
		.amdhsa_float_round_mode_16_64 0
		.amdhsa_float_denorm_mode_32 3
		.amdhsa_float_denorm_mode_16_64 3
		.amdhsa_dx10_clamp 1
		.amdhsa_ieee_mode 1
		.amdhsa_fp16_overflow 0
		.amdhsa_exception_fp_ieee_invalid_op 0
		.amdhsa_exception_fp_denorm_src 0
		.amdhsa_exception_fp_ieee_div_zero 0
		.amdhsa_exception_fp_ieee_overflow 0
		.amdhsa_exception_fp_ieee_underflow 0
		.amdhsa_exception_fp_ieee_inexact 0
		.amdhsa_exception_int_div_zero 0
	.end_amdhsa_kernel
	.section	.text._ZN9rocsparseL28internal_extract_fill_kernelILj1024EDF16_ilEEvT2_PKT1_PKS1_PKT0_21rocsparse_index_base_b20rocsparse_diag_type_S4_PS1_PS7_SA_,"axG",@progbits,_ZN9rocsparseL28internal_extract_fill_kernelILj1024EDF16_ilEEvT2_PKT1_PKS1_PKT0_21rocsparse_index_base_b20rocsparse_diag_type_S4_PS1_PS7_SA_,comdat
.Lfunc_end9:
	.size	_ZN9rocsparseL28internal_extract_fill_kernelILj1024EDF16_ilEEvT2_PKT1_PKS1_PKT0_21rocsparse_index_base_b20rocsparse_diag_type_S4_PS1_PS7_SA_, .Lfunc_end9-_ZN9rocsparseL28internal_extract_fill_kernelILj1024EDF16_ilEEvT2_PKT1_PKS1_PKT0_21rocsparse_index_base_b20rocsparse_diag_type_S4_PS1_PS7_SA_
                                        ; -- End function
	.set _ZN9rocsparseL28internal_extract_fill_kernelILj1024EDF16_ilEEvT2_PKT1_PKS1_PKT0_21rocsparse_index_base_b20rocsparse_diag_type_S4_PS1_PS7_SA_.num_vgpr, 18
	.set _ZN9rocsparseL28internal_extract_fill_kernelILj1024EDF16_ilEEvT2_PKT1_PKS1_PKT0_21rocsparse_index_base_b20rocsparse_diag_type_S4_PS1_PS7_SA_.num_agpr, 0
	.set _ZN9rocsparseL28internal_extract_fill_kernelILj1024EDF16_ilEEvT2_PKT1_PKS1_PKT0_21rocsparse_index_base_b20rocsparse_diag_type_S4_PS1_PS7_SA_.numbered_sgpr, 19
	.set _ZN9rocsparseL28internal_extract_fill_kernelILj1024EDF16_ilEEvT2_PKT1_PKS1_PKT0_21rocsparse_index_base_b20rocsparse_diag_type_S4_PS1_PS7_SA_.num_named_barrier, 0
	.set _ZN9rocsparseL28internal_extract_fill_kernelILj1024EDF16_ilEEvT2_PKT1_PKS1_PKT0_21rocsparse_index_base_b20rocsparse_diag_type_S4_PS1_PS7_SA_.private_seg_size, 0
	.set _ZN9rocsparseL28internal_extract_fill_kernelILj1024EDF16_ilEEvT2_PKT1_PKS1_PKT0_21rocsparse_index_base_b20rocsparse_diag_type_S4_PS1_PS7_SA_.uses_vcc, 1
	.set _ZN9rocsparseL28internal_extract_fill_kernelILj1024EDF16_ilEEvT2_PKT1_PKS1_PKT0_21rocsparse_index_base_b20rocsparse_diag_type_S4_PS1_PS7_SA_.uses_flat_scratch, 0
	.set _ZN9rocsparseL28internal_extract_fill_kernelILj1024EDF16_ilEEvT2_PKT1_PKS1_PKT0_21rocsparse_index_base_b20rocsparse_diag_type_S4_PS1_PS7_SA_.has_dyn_sized_stack, 0
	.set _ZN9rocsparseL28internal_extract_fill_kernelILj1024EDF16_ilEEvT2_PKT1_PKS1_PKT0_21rocsparse_index_base_b20rocsparse_diag_type_S4_PS1_PS7_SA_.has_recursion, 0
	.set _ZN9rocsparseL28internal_extract_fill_kernelILj1024EDF16_ilEEvT2_PKT1_PKS1_PKT0_21rocsparse_index_base_b20rocsparse_diag_type_S4_PS1_PS7_SA_.has_indirect_call, 0
	.section	.AMDGPU.csdata,"",@progbits
; Kernel info:
; codeLenInByte = 548
; TotalNumSgprs: 23
; NumVgprs: 18
; ScratchSize: 0
; MemoryBound: 0
; FloatMode: 240
; IeeeMode: 1
; LDSByteSize: 0 bytes/workgroup (compile time only)
; SGPRBlocks: 2
; VGPRBlocks: 4
; NumSGPRsForWavesPerEU: 23
; NumVGPRsForWavesPerEU: 18
; Occupancy: 10
; WaveLimiterHint : 0
; COMPUTE_PGM_RSRC2:SCRATCH_EN: 0
; COMPUTE_PGM_RSRC2:USER_SGPR: 6
; COMPUTE_PGM_RSRC2:TRAP_HANDLER: 0
; COMPUTE_PGM_RSRC2:TGID_X_EN: 1
; COMPUTE_PGM_RSRC2:TGID_Y_EN: 0
; COMPUTE_PGM_RSRC2:TGID_Z_EN: 0
; COMPUTE_PGM_RSRC2:TIDIG_COMP_CNT: 0
	.section	.text._ZN9rocsparseL28internal_extract_fill_kernelILj1024EDF16_liEEvT2_PKT1_PKS1_PKT0_21rocsparse_index_base_b20rocsparse_diag_type_S4_PS1_PS7_SA_,"axG",@progbits,_ZN9rocsparseL28internal_extract_fill_kernelILj1024EDF16_liEEvT2_PKT1_PKS1_PKT0_21rocsparse_index_base_b20rocsparse_diag_type_S4_PS1_PS7_SA_,comdat
	.globl	_ZN9rocsparseL28internal_extract_fill_kernelILj1024EDF16_liEEvT2_PKT1_PKS1_PKT0_21rocsparse_index_base_b20rocsparse_diag_type_S4_PS1_PS7_SA_ ; -- Begin function _ZN9rocsparseL28internal_extract_fill_kernelILj1024EDF16_liEEvT2_PKT1_PKS1_PKT0_21rocsparse_index_base_b20rocsparse_diag_type_S4_PS1_PS7_SA_
	.p2align	8
	.type	_ZN9rocsparseL28internal_extract_fill_kernelILj1024EDF16_liEEvT2_PKT1_PKS1_PKT0_21rocsparse_index_base_b20rocsparse_diag_type_S4_PS1_PS7_SA_,@function
_ZN9rocsparseL28internal_extract_fill_kernelILj1024EDF16_liEEvT2_PKT1_PKS1_PKT0_21rocsparse_index_base_b20rocsparse_diag_type_S4_PS1_PS7_SA_: ; @_ZN9rocsparseL28internal_extract_fill_kernelILj1024EDF16_liEEvT2_PKT1_PKS1_PKT0_21rocsparse_index_base_b20rocsparse_diag_type_S4_PS1_PS7_SA_
; %bb.0:
	s_load_dword s0, s[4:5], 0x0
	s_load_dword s2, s[4:5], 0x5c
	v_mov_b32_e32 v5, 0
	s_waitcnt lgkmcnt(0)
	s_ashr_i32 s1, s0, 31
	s_and_b32 s2, s2, 0xffff
	s_mul_i32 s6, s6, s2
	v_add_u32_e32 v4, s6, v0
	v_cmp_gt_i64_e32 vcc, s[0:1], v[4:5]
	s_and_saveexec_b64 s[0:1], vcc
	s_cbranch_execz .LBB10_17
; %bb.1:
	s_load_dwordx2 s[0:1], s[4:5], 0x8
	v_lshlrev_b64 v[5:6], 3, v[4:5]
	s_waitcnt lgkmcnt(0)
	v_mov_b32_e32 v1, s1
	v_add_co_u32_e32 v0, vcc, s0, v5
	v_addc_co_u32_e32 v1, vcc, v1, v6, vcc
	global_load_dwordx4 v[0:3], v[0:1], off
	s_waitcnt vmcnt(0)
	v_cmp_lt_i64_e32 vcc, v[0:1], v[2:3]
	s_and_b64 exec, exec, vcc
	s_cbranch_execz .LBB10_17
; %bb.2:
	s_load_dwordx4 s[0:3], s[4:5], 0x30
	s_waitcnt lgkmcnt(0)
	v_mov_b32_e32 v7, s1
	v_add_co_u32_e32 v5, vcc, s0, v5
	v_addc_co_u32_e32 v6, vcc, v7, v6, vcc
	global_load_dwordx2 v[9:10], v[5:6], off
	s_load_dwordx2 s[6:7], s[4:5], 0x40
	s_load_dwordx8 s[8:15], s[4:5], 0x10
	s_load_dword s16, s[4:5], 0x48
	s_mov_b32 s1, 0
	v_lshlrev_b64 v[5:6], 1, v[0:1]
	v_lshlrev_b64 v[7:8], 2, v[0:1]
	s_waitcnt lgkmcnt(0)
	s_bitcmp1_b32 s13, 0
	v_subrev_co_u32_e32 v2, vcc, s12, v2
	s_cselect_b64 s[4:5], -1, 0
	v_subbrev_co_u32_e32 v3, vcc, 0, v3, vcc
	s_xor_b64 s[4:5], s[4:5], -1
	s_mov_b32 s0, s12
	v_subrev_co_u32_e32 v0, vcc, s12, v0
	s_cmp_lg_u32 s14, 1
	v_subbrev_co_u32_e32 v1, vcc, 0, v1, vcc
	s_cselect_b64 s[14:15], -1, 0
	s_lshl_b64 s[18:19], s[0:1], 1
	v_mov_b32_e32 v13, s19
	v_subrev_co_u32_e32 v5, vcc, s18, v5
	s_lshl_b64 s[0:1], s[0:1], 2
	v_subb_co_u32_e32 v6, vcc, v6, v13, vcc
	v_mov_b32_e32 v14, s1
	v_subrev_co_u32_e32 v7, vcc, s0, v7
	v_subb_co_u32_e32 v8, vcc, v8, v14, vcc
	v_mov_b32_e32 v11, s11
	v_add_co_u32_e32 v5, vcc, s10, v5
	v_addc_co_u32_e32 v6, vcc, v11, v6, vcc
	v_mov_b32_e32 v12, s9
	v_add_co_u32_e32 v7, vcc, s8, v7
	v_addc_co_u32_e32 v8, vcc, v12, v8, vcc
	s_mov_b64 s[8:9], 0
	s_waitcnt vmcnt(0)
	v_subrev_co_u32_e32 v9, vcc, s16, v9
	v_subbrev_co_u32_e32 v10, vcc, 0, v10, vcc
	s_branch .LBB10_4
.LBB10_3:                               ;   in Loop: Header=BB10_4 Depth=1
	s_or_b64 exec, exec, s[10:11]
	v_add_co_u32_e32 v0, vcc, 1, v0
	v_addc_co_u32_e32 v1, vcc, 0, v1, vcc
	v_cmp_ge_i64_e32 vcc, v[0:1], v[2:3]
	v_add_co_u32_e64 v5, s[0:1], 2, v5
	s_or_b64 s[8:9], vcc, s[8:9]
	v_add_co_u32_e32 v7, vcc, 4, v7
	v_addc_co_u32_e64 v6, s[0:1], 0, v6, s[0:1]
	v_addc_co_u32_e32 v8, vcc, 0, v8, vcc
	s_andn2_b64 exec, exec, s[8:9]
	s_cbranch_execz .LBB10_17
.LBB10_4:                               ; =>This Inner Loop Header: Depth=1
	global_load_dword v11, v[7:8], off
	s_and_b64 vcc, exec, s[4:5]
	s_mov_b64 s[10:11], -1
                                        ; implicit-def: $sgpr0_sgpr1
	s_waitcnt vmcnt(0)
	v_subrev_u32_e32 v11, s12, v11
	s_cbranch_vccz .LBB10_10
; %bb.5:                                ;   in Loop: Header=BB10_4 Depth=1
	s_and_b64 vcc, exec, s[14:15]
                                        ; implicit-def: $sgpr0_sgpr1
	s_cbranch_vccz .LBB10_7
; %bb.6:                                ;   in Loop: Header=BB10_4 Depth=1
	v_cmp_le_i32_e64 s[0:1], v4, v11
	s_mov_b64 s[10:11], 0
.LBB10_7:                               ;   in Loop: Header=BB10_4 Depth=1
	s_andn2_b64 vcc, exec, s[10:11]
	s_cbranch_vccnz .LBB10_9
; %bb.8:                                ;   in Loop: Header=BB10_4 Depth=1
	v_cmp_lt_i32_e32 vcc, v4, v11
	s_andn2_b64 s[0:1], s[0:1], exec
	s_and_b64 s[10:11], vcc, exec
	s_or_b64 s[0:1], s[0:1], s[10:11]
.LBB10_9:                               ;   in Loop: Header=BB10_4 Depth=1
	s_mov_b64 s[10:11], 0
.LBB10_10:                              ;   in Loop: Header=BB10_4 Depth=1
	s_andn2_b64 vcc, exec, s[10:11]
	s_cbranch_vccnz .LBB10_15
; %bb.11:                               ;   in Loop: Header=BB10_4 Depth=1
	s_mov_b64 s[10:11], -1
	s_and_b64 vcc, exec, s[14:15]
                                        ; implicit-def: $sgpr0_sgpr1
	s_cbranch_vccz .LBB10_13
; %bb.12:                               ;   in Loop: Header=BB10_4 Depth=1
	v_cmp_ge_i32_e64 s[0:1], v4, v11
	s_mov_b64 s[10:11], 0
.LBB10_13:                              ;   in Loop: Header=BB10_4 Depth=1
	s_andn2_b64 vcc, exec, s[10:11]
	s_cbranch_vccnz .LBB10_15
; %bb.14:                               ;   in Loop: Header=BB10_4 Depth=1
	v_cmp_gt_i32_e32 vcc, v4, v11
	s_andn2_b64 s[0:1], s[0:1], exec
	s_and_b64 s[10:11], vcc, exec
	s_or_b64 s[0:1], s[0:1], s[10:11]
.LBB10_15:                              ;   in Loop: Header=BB10_4 Depth=1
	s_and_saveexec_b64 s[10:11], s[0:1]
	s_cbranch_execz .LBB10_3
; %bb.16:                               ;   in Loop: Header=BB10_4 Depth=1
	global_load_ushort v16, v[5:6], off
	v_add_co_u32_e32 v12, vcc, 1, v9
	v_lshlrev_b64 v[14:15], 1, v[9:10]
	v_addc_co_u32_e32 v13, vcc, 0, v10, vcc
	v_mov_b32_e32 v17, s7
	v_lshlrev_b64 v[9:10], 2, v[9:10]
	v_add_co_u32_e32 v14, vcc, s6, v14
	v_addc_co_u32_e32 v15, vcc, v17, v15, vcc
	v_mov_b32_e32 v18, s3
	v_add_co_u32_e32 v9, vcc, s2, v9
	v_add_u32_e32 v11, s16, v11
	v_addc_co_u32_e32 v10, vcc, v18, v10, vcc
	global_store_dword v[9:10], v11, off
	s_waitcnt vmcnt(1)
	global_store_short v[14:15], v16, off
	v_mov_b32_e32 v9, v12
	v_mov_b32_e32 v10, v13
	s_branch .LBB10_3
.LBB10_17:
	s_endpgm
	.section	.rodata,"a",@progbits
	.p2align	6, 0x0
	.amdhsa_kernel _ZN9rocsparseL28internal_extract_fill_kernelILj1024EDF16_liEEvT2_PKT1_PKS1_PKT0_21rocsparse_index_base_b20rocsparse_diag_type_S4_PS1_PS7_SA_
		.amdhsa_group_segment_fixed_size 0
		.amdhsa_private_segment_fixed_size 0
		.amdhsa_kernarg_size 336
		.amdhsa_user_sgpr_count 6
		.amdhsa_user_sgpr_private_segment_buffer 1
		.amdhsa_user_sgpr_dispatch_ptr 0
		.amdhsa_user_sgpr_queue_ptr 0
		.amdhsa_user_sgpr_kernarg_segment_ptr 1
		.amdhsa_user_sgpr_dispatch_id 0
		.amdhsa_user_sgpr_flat_scratch_init 0
		.amdhsa_user_sgpr_private_segment_size 0
		.amdhsa_uses_dynamic_stack 0
		.amdhsa_system_sgpr_private_segment_wavefront_offset 0
		.amdhsa_system_sgpr_workgroup_id_x 1
		.amdhsa_system_sgpr_workgroup_id_y 0
		.amdhsa_system_sgpr_workgroup_id_z 0
		.amdhsa_system_sgpr_workgroup_info 0
		.amdhsa_system_vgpr_workitem_id 0
		.amdhsa_next_free_vgpr 19
		.amdhsa_next_free_sgpr 20
		.amdhsa_reserve_vcc 1
		.amdhsa_reserve_flat_scratch 0
		.amdhsa_float_round_mode_32 0
		.amdhsa_float_round_mode_16_64 0
		.amdhsa_float_denorm_mode_32 3
		.amdhsa_float_denorm_mode_16_64 3
		.amdhsa_dx10_clamp 1
		.amdhsa_ieee_mode 1
		.amdhsa_fp16_overflow 0
		.amdhsa_exception_fp_ieee_invalid_op 0
		.amdhsa_exception_fp_denorm_src 0
		.amdhsa_exception_fp_ieee_div_zero 0
		.amdhsa_exception_fp_ieee_overflow 0
		.amdhsa_exception_fp_ieee_underflow 0
		.amdhsa_exception_fp_ieee_inexact 0
		.amdhsa_exception_int_div_zero 0
	.end_amdhsa_kernel
	.section	.text._ZN9rocsparseL28internal_extract_fill_kernelILj1024EDF16_liEEvT2_PKT1_PKS1_PKT0_21rocsparse_index_base_b20rocsparse_diag_type_S4_PS1_PS7_SA_,"axG",@progbits,_ZN9rocsparseL28internal_extract_fill_kernelILj1024EDF16_liEEvT2_PKT1_PKS1_PKT0_21rocsparse_index_base_b20rocsparse_diag_type_S4_PS1_PS7_SA_,comdat
.Lfunc_end10:
	.size	_ZN9rocsparseL28internal_extract_fill_kernelILj1024EDF16_liEEvT2_PKT1_PKS1_PKT0_21rocsparse_index_base_b20rocsparse_diag_type_S4_PS1_PS7_SA_, .Lfunc_end10-_ZN9rocsparseL28internal_extract_fill_kernelILj1024EDF16_liEEvT2_PKT1_PKS1_PKT0_21rocsparse_index_base_b20rocsparse_diag_type_S4_PS1_PS7_SA_
                                        ; -- End function
	.set _ZN9rocsparseL28internal_extract_fill_kernelILj1024EDF16_liEEvT2_PKT1_PKS1_PKT0_21rocsparse_index_base_b20rocsparse_diag_type_S4_PS1_PS7_SA_.num_vgpr, 19
	.set _ZN9rocsparseL28internal_extract_fill_kernelILj1024EDF16_liEEvT2_PKT1_PKS1_PKT0_21rocsparse_index_base_b20rocsparse_diag_type_S4_PS1_PS7_SA_.num_agpr, 0
	.set _ZN9rocsparseL28internal_extract_fill_kernelILj1024EDF16_liEEvT2_PKT1_PKS1_PKT0_21rocsparse_index_base_b20rocsparse_diag_type_S4_PS1_PS7_SA_.numbered_sgpr, 20
	.set _ZN9rocsparseL28internal_extract_fill_kernelILj1024EDF16_liEEvT2_PKT1_PKS1_PKT0_21rocsparse_index_base_b20rocsparse_diag_type_S4_PS1_PS7_SA_.num_named_barrier, 0
	.set _ZN9rocsparseL28internal_extract_fill_kernelILj1024EDF16_liEEvT2_PKT1_PKS1_PKT0_21rocsparse_index_base_b20rocsparse_diag_type_S4_PS1_PS7_SA_.private_seg_size, 0
	.set _ZN9rocsparseL28internal_extract_fill_kernelILj1024EDF16_liEEvT2_PKT1_PKS1_PKT0_21rocsparse_index_base_b20rocsparse_diag_type_S4_PS1_PS7_SA_.uses_vcc, 1
	.set _ZN9rocsparseL28internal_extract_fill_kernelILj1024EDF16_liEEvT2_PKT1_PKS1_PKT0_21rocsparse_index_base_b20rocsparse_diag_type_S4_PS1_PS7_SA_.uses_flat_scratch, 0
	.set _ZN9rocsparseL28internal_extract_fill_kernelILj1024EDF16_liEEvT2_PKT1_PKS1_PKT0_21rocsparse_index_base_b20rocsparse_diag_type_S4_PS1_PS7_SA_.has_dyn_sized_stack, 0
	.set _ZN9rocsparseL28internal_extract_fill_kernelILj1024EDF16_liEEvT2_PKT1_PKS1_PKT0_21rocsparse_index_base_b20rocsparse_diag_type_S4_PS1_PS7_SA_.has_recursion, 0
	.set _ZN9rocsparseL28internal_extract_fill_kernelILj1024EDF16_liEEvT2_PKT1_PKS1_PKT0_21rocsparse_index_base_b20rocsparse_diag_type_S4_PS1_PS7_SA_.has_indirect_call, 0
	.section	.AMDGPU.csdata,"",@progbits
; Kernel info:
; codeLenInByte = 596
; TotalNumSgprs: 24
; NumVgprs: 19
; ScratchSize: 0
; MemoryBound: 0
; FloatMode: 240
; IeeeMode: 1
; LDSByteSize: 0 bytes/workgroup (compile time only)
; SGPRBlocks: 2
; VGPRBlocks: 4
; NumSGPRsForWavesPerEU: 24
; NumVGPRsForWavesPerEU: 19
; Occupancy: 10
; WaveLimiterHint : 0
; COMPUTE_PGM_RSRC2:SCRATCH_EN: 0
; COMPUTE_PGM_RSRC2:USER_SGPR: 6
; COMPUTE_PGM_RSRC2:TRAP_HANDLER: 0
; COMPUTE_PGM_RSRC2:TGID_X_EN: 1
; COMPUTE_PGM_RSRC2:TGID_Y_EN: 0
; COMPUTE_PGM_RSRC2:TGID_Z_EN: 0
; COMPUTE_PGM_RSRC2:TIDIG_COMP_CNT: 0
	.section	.text._ZN9rocsparseL28internal_extract_fill_kernelILj1024EDF16_llEEvT2_PKT1_PKS1_PKT0_21rocsparse_index_base_b20rocsparse_diag_type_S4_PS1_PS7_SA_,"axG",@progbits,_ZN9rocsparseL28internal_extract_fill_kernelILj1024EDF16_llEEvT2_PKT1_PKS1_PKT0_21rocsparse_index_base_b20rocsparse_diag_type_S4_PS1_PS7_SA_,comdat
	.globl	_ZN9rocsparseL28internal_extract_fill_kernelILj1024EDF16_llEEvT2_PKT1_PKS1_PKT0_21rocsparse_index_base_b20rocsparse_diag_type_S4_PS1_PS7_SA_ ; -- Begin function _ZN9rocsparseL28internal_extract_fill_kernelILj1024EDF16_llEEvT2_PKT1_PKS1_PKT0_21rocsparse_index_base_b20rocsparse_diag_type_S4_PS1_PS7_SA_
	.p2align	8
	.type	_ZN9rocsparseL28internal_extract_fill_kernelILj1024EDF16_llEEvT2_PKT1_PKS1_PKT0_21rocsparse_index_base_b20rocsparse_diag_type_S4_PS1_PS7_SA_,@function
_ZN9rocsparseL28internal_extract_fill_kernelILj1024EDF16_llEEvT2_PKT1_PKS1_PKT0_21rocsparse_index_base_b20rocsparse_diag_type_S4_PS1_PS7_SA_: ; @_ZN9rocsparseL28internal_extract_fill_kernelILj1024EDF16_llEEvT2_PKT1_PKS1_PKT0_21rocsparse_index_base_b20rocsparse_diag_type_S4_PS1_PS7_SA_
; %bb.0:
	s_load_dword s2, s[4:5], 0x5c
	s_load_dwordx2 s[0:1], s[4:5], 0x0
	v_mov_b32_e32 v5, 0
	s_waitcnt lgkmcnt(0)
	s_and_b32 s2, s2, 0xffff
	s_mul_i32 s6, s6, s2
	v_add_u32_e32 v4, s6, v0
	v_cmp_gt_i64_e32 vcc, s[0:1], v[4:5]
	s_and_saveexec_b64 s[0:1], vcc
	s_cbranch_execz .LBB11_17
; %bb.1:
	s_load_dwordx2 s[0:1], s[4:5], 0x8
	v_lshlrev_b64 v[6:7], 3, v[4:5]
	s_waitcnt lgkmcnt(0)
	v_mov_b32_e32 v1, s1
	v_add_co_u32_e32 v0, vcc, s0, v6
	v_addc_co_u32_e32 v1, vcc, v1, v7, vcc
	global_load_dwordx4 v[0:3], v[0:1], off
	s_waitcnt vmcnt(0)
	v_cmp_lt_i64_e32 vcc, v[0:1], v[2:3]
	s_and_b64 exec, exec, vcc
	s_cbranch_execz .LBB11_17
; %bb.2:
	s_load_dwordx4 s[0:3], s[4:5], 0x30
	s_waitcnt lgkmcnt(0)
	v_mov_b32_e32 v8, s1
	v_add_co_u32_e32 v6, vcc, s0, v6
	v_addc_co_u32_e32 v7, vcc, v8, v7, vcc
	global_load_dwordx2 v[10:11], v[6:7], off
	s_load_dwordx2 s[6:7], s[4:5], 0x40
	s_load_dwordx8 s[8:15], s[4:5], 0x10
	s_load_dword s18, s[4:5], 0x48
	v_lshlrev_b64 v[6:7], 1, v[0:1]
	v_lshlrev_b64 v[8:9], 3, v[0:1]
	s_mov_b32 s5, 0
	s_waitcnt lgkmcnt(0)
	v_subrev_co_u32_e32 v2, vcc, s12, v2
	s_bitcmp1_b32 s13, 0
	v_subbrev_co_u32_e32 v3, vcc, 0, v3, vcc
	s_cselect_b64 s[0:1], -1, 0
	s_mov_b32 s4, s12
	v_subrev_co_u32_e32 v0, vcc, s12, v0
	s_xor_b64 s[12:13], s[0:1], -1
	s_cmp_lg_u32 s14, 1
	v_subbrev_co_u32_e32 v1, vcc, 0, v1, vcc
	s_cselect_b64 s[14:15], -1, 0
	s_lshl_b64 s[0:1], s[4:5], 1
	v_mov_b32_e32 v14, s1
	v_subrev_co_u32_e32 v6, vcc, s0, v6
	s_lshl_b64 s[16:17], s[4:5], 3
	v_subb_co_u32_e32 v7, vcc, v7, v14, vcc
	v_mov_b32_e32 v15, s17
	v_subrev_co_u32_e32 v8, vcc, s16, v8
	v_subb_co_u32_e32 v9, vcc, v9, v15, vcc
	v_mov_b32_e32 v12, s11
	v_add_co_u32_e32 v6, vcc, s10, v6
	v_addc_co_u32_e32 v7, vcc, v12, v7, vcc
	v_mov_b32_e32 v13, s9
	v_add_co_u32_e32 v8, vcc, s8, v8
	v_addc_co_u32_e32 v9, vcc, v13, v9, vcc
	s_mov_b64 s[8:9], 0
	s_waitcnt vmcnt(0)
	v_subrev_co_u32_e32 v10, vcc, s18, v10
	v_subbrev_co_u32_e32 v11, vcc, 0, v11, vcc
	s_branch .LBB11_4
.LBB11_3:                               ;   in Loop: Header=BB11_4 Depth=1
	s_or_b64 exec, exec, s[0:1]
	v_add_co_u32_e32 v0, vcc, 1, v0
	v_addc_co_u32_e32 v1, vcc, 0, v1, vcc
	v_cmp_ge_i64_e32 vcc, v[0:1], v[2:3]
	v_add_co_u32_e64 v6, s[0:1], 2, v6
	s_or_b64 s[8:9], vcc, s[8:9]
	v_add_co_u32_e32 v8, vcc, 8, v8
	v_addc_co_u32_e64 v7, s[0:1], 0, v7, s[0:1]
	v_addc_co_u32_e32 v9, vcc, 0, v9, vcc
	s_andn2_b64 exec, exec, s[8:9]
	s_cbranch_execz .LBB11_17
.LBB11_4:                               ; =>This Inner Loop Header: Depth=1
	global_load_dwordx2 v[12:13], v[8:9], off
	s_and_b64 vcc, exec, s[12:13]
	s_mov_b64 s[16:17], -1
                                        ; implicit-def: $sgpr10_sgpr11
	s_waitcnt vmcnt(0)
	v_subrev_co_u32_e64 v12, s[0:1], s4, v12
	v_subbrev_co_u32_e64 v13, s[0:1], 0, v13, s[0:1]
	s_cbranch_vccz .LBB11_10
; %bb.5:                                ;   in Loop: Header=BB11_4 Depth=1
	s_mov_b64 s[0:1], -1
	s_and_b64 vcc, exec, s[14:15]
                                        ; implicit-def: $sgpr10_sgpr11
	s_cbranch_vccz .LBB11_7
; %bb.6:                                ;   in Loop: Header=BB11_4 Depth=1
	v_cmp_ge_i64_e64 s[10:11], v[12:13], v[4:5]
	s_mov_b64 s[0:1], 0
.LBB11_7:                               ;   in Loop: Header=BB11_4 Depth=1
	s_andn2_b64 vcc, exec, s[0:1]
	s_cbranch_vccnz .LBB11_9
; %bb.8:                                ;   in Loop: Header=BB11_4 Depth=1
	v_cmp_gt_i64_e32 vcc, v[12:13], v[4:5]
	s_andn2_b64 s[0:1], s[10:11], exec
	s_and_b64 s[10:11], vcc, exec
	s_or_b64 s[10:11], s[0:1], s[10:11]
.LBB11_9:                               ;   in Loop: Header=BB11_4 Depth=1
	s_mov_b64 s[16:17], 0
.LBB11_10:                              ;   in Loop: Header=BB11_4 Depth=1
	s_andn2_b64 vcc, exec, s[16:17]
	s_cbranch_vccnz .LBB11_15
; %bb.11:                               ;   in Loop: Header=BB11_4 Depth=1
	s_mov_b64 s[0:1], -1
	s_and_b64 vcc, exec, s[14:15]
                                        ; implicit-def: $sgpr10_sgpr11
	s_cbranch_vccz .LBB11_13
; %bb.12:                               ;   in Loop: Header=BB11_4 Depth=1
	v_cmp_le_i64_e64 s[10:11], v[12:13], v[4:5]
	s_mov_b64 s[0:1], 0
.LBB11_13:                              ;   in Loop: Header=BB11_4 Depth=1
	s_andn2_b64 vcc, exec, s[0:1]
	s_cbranch_vccnz .LBB11_15
; %bb.14:                               ;   in Loop: Header=BB11_4 Depth=1
	v_cmp_lt_i64_e32 vcc, v[12:13], v[4:5]
	s_andn2_b64 s[0:1], s[10:11], exec
	s_and_b64 s[10:11], vcc, exec
	s_or_b64 s[10:11], s[0:1], s[10:11]
.LBB11_15:                              ;   in Loop: Header=BB11_4 Depth=1
	s_and_saveexec_b64 s[0:1], s[10:11]
	s_cbranch_execz .LBB11_3
; %bb.16:                               ;   in Loop: Header=BB11_4 Depth=1
	global_load_ushort v18, v[6:7], off
	v_add_co_u32_e32 v14, vcc, 1, v10
	v_addc_co_u32_e32 v15, vcc, 0, v11, vcc
	v_lshlrev_b64 v[16:17], 1, v[10:11]
	v_add_co_u32_e32 v12, vcc, s18, v12
	v_addc_co_u32_e32 v13, vcc, 0, v13, vcc
	v_mov_b32_e32 v19, s7
	v_lshlrev_b64 v[10:11], 3, v[10:11]
	v_add_co_u32_e32 v16, vcc, s6, v16
	v_addc_co_u32_e32 v17, vcc, v19, v17, vcc
	v_mov_b32_e32 v20, s3
	v_add_co_u32_e32 v10, vcc, s2, v10
	v_addc_co_u32_e32 v11, vcc, v20, v11, vcc
	global_store_dwordx2 v[10:11], v[12:13], off
	s_waitcnt vmcnt(1)
	global_store_short v[16:17], v18, off
	v_mov_b32_e32 v10, v14
	v_mov_b32_e32 v11, v15
	s_branch .LBB11_3
.LBB11_17:
	s_endpgm
	.section	.rodata,"a",@progbits
	.p2align	6, 0x0
	.amdhsa_kernel _ZN9rocsparseL28internal_extract_fill_kernelILj1024EDF16_llEEvT2_PKT1_PKS1_PKT0_21rocsparse_index_base_b20rocsparse_diag_type_S4_PS1_PS7_SA_
		.amdhsa_group_segment_fixed_size 0
		.amdhsa_private_segment_fixed_size 0
		.amdhsa_kernarg_size 336
		.amdhsa_user_sgpr_count 6
		.amdhsa_user_sgpr_private_segment_buffer 1
		.amdhsa_user_sgpr_dispatch_ptr 0
		.amdhsa_user_sgpr_queue_ptr 0
		.amdhsa_user_sgpr_kernarg_segment_ptr 1
		.amdhsa_user_sgpr_dispatch_id 0
		.amdhsa_user_sgpr_flat_scratch_init 0
		.amdhsa_user_sgpr_private_segment_size 0
		.amdhsa_uses_dynamic_stack 0
		.amdhsa_system_sgpr_private_segment_wavefront_offset 0
		.amdhsa_system_sgpr_workgroup_id_x 1
		.amdhsa_system_sgpr_workgroup_id_y 0
		.amdhsa_system_sgpr_workgroup_id_z 0
		.amdhsa_system_sgpr_workgroup_info 0
		.amdhsa_system_vgpr_workitem_id 0
		.amdhsa_next_free_vgpr 21
		.amdhsa_next_free_sgpr 19
		.amdhsa_reserve_vcc 1
		.amdhsa_reserve_flat_scratch 0
		.amdhsa_float_round_mode_32 0
		.amdhsa_float_round_mode_16_64 0
		.amdhsa_float_denorm_mode_32 3
		.amdhsa_float_denorm_mode_16_64 3
		.amdhsa_dx10_clamp 1
		.amdhsa_ieee_mode 1
		.amdhsa_fp16_overflow 0
		.amdhsa_exception_fp_ieee_invalid_op 0
		.amdhsa_exception_fp_denorm_src 0
		.amdhsa_exception_fp_ieee_div_zero 0
		.amdhsa_exception_fp_ieee_overflow 0
		.amdhsa_exception_fp_ieee_underflow 0
		.amdhsa_exception_fp_ieee_inexact 0
		.amdhsa_exception_int_div_zero 0
	.end_amdhsa_kernel
	.section	.text._ZN9rocsparseL28internal_extract_fill_kernelILj1024EDF16_llEEvT2_PKT1_PKS1_PKT0_21rocsparse_index_base_b20rocsparse_diag_type_S4_PS1_PS7_SA_,"axG",@progbits,_ZN9rocsparseL28internal_extract_fill_kernelILj1024EDF16_llEEvT2_PKT1_PKS1_PKT0_21rocsparse_index_base_b20rocsparse_diag_type_S4_PS1_PS7_SA_,comdat
.Lfunc_end11:
	.size	_ZN9rocsparseL28internal_extract_fill_kernelILj1024EDF16_llEEvT2_PKT1_PKS1_PKT0_21rocsparse_index_base_b20rocsparse_diag_type_S4_PS1_PS7_SA_, .Lfunc_end11-_ZN9rocsparseL28internal_extract_fill_kernelILj1024EDF16_llEEvT2_PKT1_PKS1_PKT0_21rocsparse_index_base_b20rocsparse_diag_type_S4_PS1_PS7_SA_
                                        ; -- End function
	.set _ZN9rocsparseL28internal_extract_fill_kernelILj1024EDF16_llEEvT2_PKT1_PKS1_PKT0_21rocsparse_index_base_b20rocsparse_diag_type_S4_PS1_PS7_SA_.num_vgpr, 21
	.set _ZN9rocsparseL28internal_extract_fill_kernelILj1024EDF16_llEEvT2_PKT1_PKS1_PKT0_21rocsparse_index_base_b20rocsparse_diag_type_S4_PS1_PS7_SA_.num_agpr, 0
	.set _ZN9rocsparseL28internal_extract_fill_kernelILj1024EDF16_llEEvT2_PKT1_PKS1_PKT0_21rocsparse_index_base_b20rocsparse_diag_type_S4_PS1_PS7_SA_.numbered_sgpr, 19
	.set _ZN9rocsparseL28internal_extract_fill_kernelILj1024EDF16_llEEvT2_PKT1_PKS1_PKT0_21rocsparse_index_base_b20rocsparse_diag_type_S4_PS1_PS7_SA_.num_named_barrier, 0
	.set _ZN9rocsparseL28internal_extract_fill_kernelILj1024EDF16_llEEvT2_PKT1_PKS1_PKT0_21rocsparse_index_base_b20rocsparse_diag_type_S4_PS1_PS7_SA_.private_seg_size, 0
	.set _ZN9rocsparseL28internal_extract_fill_kernelILj1024EDF16_llEEvT2_PKT1_PKS1_PKT0_21rocsparse_index_base_b20rocsparse_diag_type_S4_PS1_PS7_SA_.uses_vcc, 1
	.set _ZN9rocsparseL28internal_extract_fill_kernelILj1024EDF16_llEEvT2_PKT1_PKS1_PKT0_21rocsparse_index_base_b20rocsparse_diag_type_S4_PS1_PS7_SA_.uses_flat_scratch, 0
	.set _ZN9rocsparseL28internal_extract_fill_kernelILj1024EDF16_llEEvT2_PKT1_PKS1_PKT0_21rocsparse_index_base_b20rocsparse_diag_type_S4_PS1_PS7_SA_.has_dyn_sized_stack, 0
	.set _ZN9rocsparseL28internal_extract_fill_kernelILj1024EDF16_llEEvT2_PKT1_PKS1_PKT0_21rocsparse_index_base_b20rocsparse_diag_type_S4_PS1_PS7_SA_.has_recursion, 0
	.set _ZN9rocsparseL28internal_extract_fill_kernelILj1024EDF16_llEEvT2_PKT1_PKS1_PKT0_21rocsparse_index_base_b20rocsparse_diag_type_S4_PS1_PS7_SA_.has_indirect_call, 0
	.section	.AMDGPU.csdata,"",@progbits
; Kernel info:
; codeLenInByte = 612
; TotalNumSgprs: 23
; NumVgprs: 21
; ScratchSize: 0
; MemoryBound: 0
; FloatMode: 240
; IeeeMode: 1
; LDSByteSize: 0 bytes/workgroup (compile time only)
; SGPRBlocks: 2
; VGPRBlocks: 5
; NumSGPRsForWavesPerEU: 23
; NumVGPRsForWavesPerEU: 21
; Occupancy: 10
; WaveLimiterHint : 0
; COMPUTE_PGM_RSRC2:SCRATCH_EN: 0
; COMPUTE_PGM_RSRC2:USER_SGPR: 6
; COMPUTE_PGM_RSRC2:TRAP_HANDLER: 0
; COMPUTE_PGM_RSRC2:TGID_X_EN: 1
; COMPUTE_PGM_RSRC2:TGID_Y_EN: 0
; COMPUTE_PGM_RSRC2:TGID_Z_EN: 0
; COMPUTE_PGM_RSRC2:TIDIG_COMP_CNT: 0
	.section	.text._ZN9rocsparseL28internal_extract_fill_kernelILj1024E18rocsparse_bfloat16iiEEvT2_PKT1_PKS2_PKT0_21rocsparse_index_base_b20rocsparse_diag_type_S5_PS2_PS8_SB_,"axG",@progbits,_ZN9rocsparseL28internal_extract_fill_kernelILj1024E18rocsparse_bfloat16iiEEvT2_PKT1_PKS2_PKT0_21rocsparse_index_base_b20rocsparse_diag_type_S5_PS2_PS8_SB_,comdat
	.globl	_ZN9rocsparseL28internal_extract_fill_kernelILj1024E18rocsparse_bfloat16iiEEvT2_PKT1_PKS2_PKT0_21rocsparse_index_base_b20rocsparse_diag_type_S5_PS2_PS8_SB_ ; -- Begin function _ZN9rocsparseL28internal_extract_fill_kernelILj1024E18rocsparse_bfloat16iiEEvT2_PKT1_PKS2_PKT0_21rocsparse_index_base_b20rocsparse_diag_type_S5_PS2_PS8_SB_
	.p2align	8
	.type	_ZN9rocsparseL28internal_extract_fill_kernelILj1024E18rocsparse_bfloat16iiEEvT2_PKT1_PKS2_PKT0_21rocsparse_index_base_b20rocsparse_diag_type_S5_PS2_PS8_SB_,@function
_ZN9rocsparseL28internal_extract_fill_kernelILj1024E18rocsparse_bfloat16iiEEvT2_PKT1_PKS2_PKT0_21rocsparse_index_base_b20rocsparse_diag_type_S5_PS2_PS8_SB_: ; @_ZN9rocsparseL28internal_extract_fill_kernelILj1024E18rocsparse_bfloat16iiEEvT2_PKT1_PKS2_PKT0_21rocsparse_index_base_b20rocsparse_diag_type_S5_PS2_PS8_SB_
; %bb.0:
	s_load_dword s0, s[4:5], 0x5c
	s_load_dword s1, s[4:5], 0x0
	s_waitcnt lgkmcnt(0)
	s_and_b32 s0, s0, 0xffff
	s_mul_i32 s6, s6, s0
	v_add_u32_e32 v0, s6, v0
	v_cmp_gt_i32_e32 vcc, s1, v0
	s_and_saveexec_b64 s[0:1], vcc
	s_cbranch_execz .LBB12_17
; %bb.1:
	s_load_dwordx2 s[0:1], s[4:5], 0x8
	v_ashrrev_i32_e32 v1, 31, v0
	v_lshlrev_b64 v[3:4], 2, v[0:1]
	s_waitcnt lgkmcnt(0)
	v_mov_b32_e32 v2, s1
	v_add_co_u32_e32 v1, vcc, s0, v3
	v_addc_co_u32_e32 v2, vcc, v2, v4, vcc
	global_load_dwordx2 v[1:2], v[1:2], off
	s_waitcnt vmcnt(0)
	v_cmp_lt_i32_e32 vcc, v1, v2
	s_and_b64 exec, exec, vcc
	s_cbranch_execz .LBB12_17
; %bb.2:
	s_load_dwordx4 s[0:3], s[4:5], 0x30
	s_waitcnt lgkmcnt(0)
	v_mov_b32_e32 v5, s1
	v_add_co_u32_e32 v3, vcc, s0, v3
	v_addc_co_u32_e32 v4, vcc, v5, v4, vcc
	global_load_dword v7, v[3:4], off
	s_load_dwordx8 s[8:15], s[4:5], 0x10
	s_load_dwordx2 s[0:1], s[4:5], 0x40
	s_load_dword s16, s[4:5], 0x48
	s_waitcnt lgkmcnt(0)
	v_subrev_u32_e32 v1, s12, v1
	v_subrev_u32_e32 v8, s12, v2
	v_ashrrev_i32_e32 v2, 31, v1
	v_lshlrev_b64 v[3:4], 2, v[1:2]
	s_bitcmp1_b32 s13, 0
	v_mov_b32_e32 v9, s9
	s_cselect_b64 s[4:5], -1, 0
	v_lshlrev_b64 v[5:6], 1, v[1:2]
	v_add_co_u32_e32 v2, vcc, s8, v3
	s_xor_b64 s[4:5], s[4:5], -1
	v_addc_co_u32_e32 v3, vcc, v9, v4, vcc
	v_mov_b32_e32 v10, s11
	s_cmp_lg_u32 s14, 1
	v_add_co_u32_e32 v4, vcc, s10, v5
	s_cselect_b64 s[6:7], -1, 0
	v_addc_co_u32_e32 v5, vcc, v10, v6, vcc
	s_mov_b64 s[8:9], 0
	s_waitcnt vmcnt(0)
	v_subrev_u32_e32 v6, s16, v7
	s_branch .LBB12_4
.LBB12_3:                               ;   in Loop: Header=BB12_4 Depth=1
	s_or_b64 exec, exec, s[14:15]
	v_add_co_u32_e32 v2, vcc, 4, v2
	v_add_u32_e32 v1, 1, v1
	v_addc_co_u32_e32 v3, vcc, 0, v3, vcc
	v_cmp_ge_i32_e32 vcc, v1, v8
	s_or_b64 s[8:9], vcc, s[8:9]
	v_add_co_u32_e32 v4, vcc, 2, v4
	v_addc_co_u32_e32 v5, vcc, 0, v5, vcc
	s_andn2_b64 exec, exec, s[8:9]
	s_cbranch_execz .LBB12_17
.LBB12_4:                               ; =>This Inner Loop Header: Depth=1
	global_load_dword v7, v[2:3], off
	s_and_b64 vcc, exec, s[4:5]
	s_mov_b64 s[14:15], -1
                                        ; implicit-def: $sgpr10_sgpr11
	s_waitcnt vmcnt(0)
	v_subrev_u32_e32 v9, s12, v7
	s_cbranch_vccz .LBB12_10
; %bb.5:                                ;   in Loop: Header=BB12_4 Depth=1
	s_and_b64 vcc, exec, s[6:7]
                                        ; implicit-def: $sgpr10_sgpr11
	s_cbranch_vccz .LBB12_7
; %bb.6:                                ;   in Loop: Header=BB12_4 Depth=1
	v_cmp_le_i32_e64 s[10:11], v0, v9
	s_mov_b64 s[14:15], 0
.LBB12_7:                               ;   in Loop: Header=BB12_4 Depth=1
	s_andn2_b64 vcc, exec, s[14:15]
	s_cbranch_vccnz .LBB12_9
; %bb.8:                                ;   in Loop: Header=BB12_4 Depth=1
	v_cmp_lt_i32_e32 vcc, v0, v9
	s_andn2_b64 s[10:11], s[10:11], exec
	s_and_b64 s[14:15], vcc, exec
	s_or_b64 s[10:11], s[10:11], s[14:15]
.LBB12_9:                               ;   in Loop: Header=BB12_4 Depth=1
	s_mov_b64 s[14:15], 0
.LBB12_10:                              ;   in Loop: Header=BB12_4 Depth=1
	s_andn2_b64 vcc, exec, s[14:15]
	s_cbranch_vccnz .LBB12_15
; %bb.11:                               ;   in Loop: Header=BB12_4 Depth=1
	s_mov_b64 s[14:15], -1
	s_and_b64 vcc, exec, s[6:7]
                                        ; implicit-def: $sgpr10_sgpr11
	s_cbranch_vccz .LBB12_13
; %bb.12:                               ;   in Loop: Header=BB12_4 Depth=1
	v_cmp_ge_i32_e64 s[10:11], v0, v9
	s_mov_b64 s[14:15], 0
.LBB12_13:                              ;   in Loop: Header=BB12_4 Depth=1
	s_andn2_b64 vcc, exec, s[14:15]
	s_cbranch_vccnz .LBB12_15
; %bb.14:                               ;   in Loop: Header=BB12_4 Depth=1
	v_cmp_gt_i32_e32 vcc, v0, v9
	s_andn2_b64 s[10:11], s[10:11], exec
	s_and_b64 s[14:15], vcc, exec
	s_or_b64 s[10:11], s[10:11], s[14:15]
.LBB12_15:                              ;   in Loop: Header=BB12_4 Depth=1
	s_and_saveexec_b64 s[14:15], s[10:11]
	s_cbranch_execz .LBB12_3
; %bb.16:                               ;   in Loop: Header=BB12_4 Depth=1
	global_load_ushort v11, v[4:5], off
	v_ashrrev_i32_e32 v7, 31, v6
	v_add_u32_e32 v15, s16, v9
	v_lshlrev_b64 v[9:10], 1, v[6:7]
	v_add_u32_e32 v12, 1, v6
	v_mov_b32_e32 v13, s1
	v_lshlrev_b64 v[6:7], 2, v[6:7]
	v_add_co_u32_e32 v9, vcc, s0, v9
	v_addc_co_u32_e32 v10, vcc, v13, v10, vcc
	v_mov_b32_e32 v14, s3
	v_add_co_u32_e32 v6, vcc, s2, v6
	v_addc_co_u32_e32 v7, vcc, v14, v7, vcc
	global_store_dword v[6:7], v15, off
	s_waitcnt vmcnt(1)
	global_store_short v[9:10], v11, off
	v_mov_b32_e32 v6, v12
	s_branch .LBB12_3
.LBB12_17:
	s_endpgm
	.section	.rodata,"a",@progbits
	.p2align	6, 0x0
	.amdhsa_kernel _ZN9rocsparseL28internal_extract_fill_kernelILj1024E18rocsparse_bfloat16iiEEvT2_PKT1_PKS2_PKT0_21rocsparse_index_base_b20rocsparse_diag_type_S5_PS2_PS8_SB_
		.amdhsa_group_segment_fixed_size 0
		.amdhsa_private_segment_fixed_size 0
		.amdhsa_kernarg_size 336
		.amdhsa_user_sgpr_count 6
		.amdhsa_user_sgpr_private_segment_buffer 1
		.amdhsa_user_sgpr_dispatch_ptr 0
		.amdhsa_user_sgpr_queue_ptr 0
		.amdhsa_user_sgpr_kernarg_segment_ptr 1
		.amdhsa_user_sgpr_dispatch_id 0
		.amdhsa_user_sgpr_flat_scratch_init 0
		.amdhsa_user_sgpr_private_segment_size 0
		.amdhsa_uses_dynamic_stack 0
		.amdhsa_system_sgpr_private_segment_wavefront_offset 0
		.amdhsa_system_sgpr_workgroup_id_x 1
		.amdhsa_system_sgpr_workgroup_id_y 0
		.amdhsa_system_sgpr_workgroup_id_z 0
		.amdhsa_system_sgpr_workgroup_info 0
		.amdhsa_system_vgpr_workitem_id 0
		.amdhsa_next_free_vgpr 16
		.amdhsa_next_free_sgpr 17
		.amdhsa_reserve_vcc 1
		.amdhsa_reserve_flat_scratch 0
		.amdhsa_float_round_mode_32 0
		.amdhsa_float_round_mode_16_64 0
		.amdhsa_float_denorm_mode_32 3
		.amdhsa_float_denorm_mode_16_64 3
		.amdhsa_dx10_clamp 1
		.amdhsa_ieee_mode 1
		.amdhsa_fp16_overflow 0
		.amdhsa_exception_fp_ieee_invalid_op 0
		.amdhsa_exception_fp_denorm_src 0
		.amdhsa_exception_fp_ieee_div_zero 0
		.amdhsa_exception_fp_ieee_overflow 0
		.amdhsa_exception_fp_ieee_underflow 0
		.amdhsa_exception_fp_ieee_inexact 0
		.amdhsa_exception_int_div_zero 0
	.end_amdhsa_kernel
	.section	.text._ZN9rocsparseL28internal_extract_fill_kernelILj1024E18rocsparse_bfloat16iiEEvT2_PKT1_PKS2_PKT0_21rocsparse_index_base_b20rocsparse_diag_type_S5_PS2_PS8_SB_,"axG",@progbits,_ZN9rocsparseL28internal_extract_fill_kernelILj1024E18rocsparse_bfloat16iiEEvT2_PKT1_PKS2_PKT0_21rocsparse_index_base_b20rocsparse_diag_type_S5_PS2_PS8_SB_,comdat
.Lfunc_end12:
	.size	_ZN9rocsparseL28internal_extract_fill_kernelILj1024E18rocsparse_bfloat16iiEEvT2_PKT1_PKS2_PKT0_21rocsparse_index_base_b20rocsparse_diag_type_S5_PS2_PS8_SB_, .Lfunc_end12-_ZN9rocsparseL28internal_extract_fill_kernelILj1024E18rocsparse_bfloat16iiEEvT2_PKT1_PKS2_PKT0_21rocsparse_index_base_b20rocsparse_diag_type_S5_PS2_PS8_SB_
                                        ; -- End function
	.set _ZN9rocsparseL28internal_extract_fill_kernelILj1024E18rocsparse_bfloat16iiEEvT2_PKT1_PKS2_PKT0_21rocsparse_index_base_b20rocsparse_diag_type_S5_PS2_PS8_SB_.num_vgpr, 16
	.set _ZN9rocsparseL28internal_extract_fill_kernelILj1024E18rocsparse_bfloat16iiEEvT2_PKT1_PKS2_PKT0_21rocsparse_index_base_b20rocsparse_diag_type_S5_PS2_PS8_SB_.num_agpr, 0
	.set _ZN9rocsparseL28internal_extract_fill_kernelILj1024E18rocsparse_bfloat16iiEEvT2_PKT1_PKS2_PKT0_21rocsparse_index_base_b20rocsparse_diag_type_S5_PS2_PS8_SB_.numbered_sgpr, 17
	.set _ZN9rocsparseL28internal_extract_fill_kernelILj1024E18rocsparse_bfloat16iiEEvT2_PKT1_PKS2_PKT0_21rocsparse_index_base_b20rocsparse_diag_type_S5_PS2_PS8_SB_.num_named_barrier, 0
	.set _ZN9rocsparseL28internal_extract_fill_kernelILj1024E18rocsparse_bfloat16iiEEvT2_PKT1_PKS2_PKT0_21rocsparse_index_base_b20rocsparse_diag_type_S5_PS2_PS8_SB_.private_seg_size, 0
	.set _ZN9rocsparseL28internal_extract_fill_kernelILj1024E18rocsparse_bfloat16iiEEvT2_PKT1_PKS2_PKT0_21rocsparse_index_base_b20rocsparse_diag_type_S5_PS2_PS8_SB_.uses_vcc, 1
	.set _ZN9rocsparseL28internal_extract_fill_kernelILj1024E18rocsparse_bfloat16iiEEvT2_PKT1_PKS2_PKT0_21rocsparse_index_base_b20rocsparse_diag_type_S5_PS2_PS8_SB_.uses_flat_scratch, 0
	.set _ZN9rocsparseL28internal_extract_fill_kernelILj1024E18rocsparse_bfloat16iiEEvT2_PKT1_PKS2_PKT0_21rocsparse_index_base_b20rocsparse_diag_type_S5_PS2_PS8_SB_.has_dyn_sized_stack, 0
	.set _ZN9rocsparseL28internal_extract_fill_kernelILj1024E18rocsparse_bfloat16iiEEvT2_PKT1_PKS2_PKT0_21rocsparse_index_base_b20rocsparse_diag_type_S5_PS2_PS8_SB_.has_recursion, 0
	.set _ZN9rocsparseL28internal_extract_fill_kernelILj1024E18rocsparse_bfloat16iiEEvT2_PKT1_PKS2_PKT0_21rocsparse_index_base_b20rocsparse_diag_type_S5_PS2_PS8_SB_.has_indirect_call, 0
	.section	.AMDGPU.csdata,"",@progbits
; Kernel info:
; codeLenInByte = 528
; TotalNumSgprs: 21
; NumVgprs: 16
; ScratchSize: 0
; MemoryBound: 0
; FloatMode: 240
; IeeeMode: 1
; LDSByteSize: 0 bytes/workgroup (compile time only)
; SGPRBlocks: 2
; VGPRBlocks: 3
; NumSGPRsForWavesPerEU: 21
; NumVGPRsForWavesPerEU: 16
; Occupancy: 10
; WaveLimiterHint : 0
; COMPUTE_PGM_RSRC2:SCRATCH_EN: 0
; COMPUTE_PGM_RSRC2:USER_SGPR: 6
; COMPUTE_PGM_RSRC2:TRAP_HANDLER: 0
; COMPUTE_PGM_RSRC2:TGID_X_EN: 1
; COMPUTE_PGM_RSRC2:TGID_Y_EN: 0
; COMPUTE_PGM_RSRC2:TGID_Z_EN: 0
; COMPUTE_PGM_RSRC2:TIDIG_COMP_CNT: 0
	.section	.text._ZN9rocsparseL28internal_extract_fill_kernelILj1024E18rocsparse_bfloat16ilEEvT2_PKT1_PKS2_PKT0_21rocsparse_index_base_b20rocsparse_diag_type_S5_PS2_PS8_SB_,"axG",@progbits,_ZN9rocsparseL28internal_extract_fill_kernelILj1024E18rocsparse_bfloat16ilEEvT2_PKT1_PKS2_PKT0_21rocsparse_index_base_b20rocsparse_diag_type_S5_PS2_PS8_SB_,comdat
	.globl	_ZN9rocsparseL28internal_extract_fill_kernelILj1024E18rocsparse_bfloat16ilEEvT2_PKT1_PKS2_PKT0_21rocsparse_index_base_b20rocsparse_diag_type_S5_PS2_PS8_SB_ ; -- Begin function _ZN9rocsparseL28internal_extract_fill_kernelILj1024E18rocsparse_bfloat16ilEEvT2_PKT1_PKS2_PKT0_21rocsparse_index_base_b20rocsparse_diag_type_S5_PS2_PS8_SB_
	.p2align	8
	.type	_ZN9rocsparseL28internal_extract_fill_kernelILj1024E18rocsparse_bfloat16ilEEvT2_PKT1_PKS2_PKT0_21rocsparse_index_base_b20rocsparse_diag_type_S5_PS2_PS8_SB_,@function
_ZN9rocsparseL28internal_extract_fill_kernelILj1024E18rocsparse_bfloat16ilEEvT2_PKT1_PKS2_PKT0_21rocsparse_index_base_b20rocsparse_diag_type_S5_PS2_PS8_SB_: ; @_ZN9rocsparseL28internal_extract_fill_kernelILj1024E18rocsparse_bfloat16ilEEvT2_PKT1_PKS2_PKT0_21rocsparse_index_base_b20rocsparse_diag_type_S5_PS2_PS8_SB_
; %bb.0:
	s_load_dword s2, s[4:5], 0x5c
	s_load_dwordx2 s[0:1], s[4:5], 0x0
	s_waitcnt lgkmcnt(0)
	s_and_b32 s2, s2, 0xffff
	s_mul_i32 s6, s6, s2
	v_add_u32_e32 v0, s6, v0
	v_ashrrev_i32_e32 v1, 31, v0
	v_cmp_gt_i64_e32 vcc, s[0:1], v[0:1]
	s_and_saveexec_b64 s[0:1], vcc
	s_cbranch_execz .LBB13_17
; %bb.1:
	s_load_dwordx2 s[0:1], s[4:5], 0x8
	v_lshlrev_b64 v[4:5], 2, v[0:1]
	s_waitcnt lgkmcnt(0)
	v_mov_b32_e32 v3, s1
	v_add_co_u32_e32 v2, vcc, s0, v4
	v_addc_co_u32_e32 v3, vcc, v3, v5, vcc
	global_load_dwordx2 v[2:3], v[2:3], off
	s_waitcnt vmcnt(0)
	v_cmp_lt_i32_e32 vcc, v2, v3
	s_and_b64 exec, exec, vcc
	s_cbranch_execz .LBB13_17
; %bb.2:
	s_load_dwordx4 s[0:3], s[4:5], 0x30
	s_waitcnt lgkmcnt(0)
	v_mov_b32_e32 v6, s1
	v_add_co_u32_e32 v4, vcc, s0, v4
	v_addc_co_u32_e32 v5, vcc, v6, v5, vcc
	global_load_dword v8, v[4:5], off
	s_load_dwordx8 s[8:15], s[4:5], 0x10
	s_load_dwordx2 s[6:7], s[4:5], 0x40
	s_load_dword s18, s[4:5], 0x48
	s_waitcnt lgkmcnt(0)
	v_subrev_u32_e32 v2, s12, v2
	v_subrev_u32_e32 v11, s12, v3
	v_ashrrev_i32_e32 v3, 31, v2
	v_lshlrev_b64 v[4:5], 3, v[2:3]
	s_bitcmp1_b32 s13, 0
	v_mov_b32_e32 v9, s9
	s_cselect_b64 s[0:1], -1, 0
	v_lshlrev_b64 v[6:7], 1, v[2:3]
	v_add_co_u32_e32 v3, vcc, s8, v4
	s_xor_b64 s[4:5], s[0:1], -1
	v_addc_co_u32_e32 v4, vcc, v9, v5, vcc
	v_mov_b32_e32 v10, s11
	s_cmp_lg_u32 s14, 1
	v_add_co_u32_e32 v5, vcc, s10, v6
	s_cselect_b64 s[14:15], -1, 0
	v_addc_co_u32_e32 v6, vcc, v10, v7, vcc
	s_mov_b64 s[8:9], 0
	s_waitcnt vmcnt(0)
	v_subrev_u32_e32 v7, s18, v8
	s_branch .LBB13_4
.LBB13_3:                               ;   in Loop: Header=BB13_4 Depth=1
	s_or_b64 exec, exec, s[0:1]
	v_add_co_u32_e32 v3, vcc, 8, v3
	v_add_u32_e32 v2, 1, v2
	v_addc_co_u32_e32 v4, vcc, 0, v4, vcc
	v_cmp_ge_i32_e32 vcc, v2, v11
	s_or_b64 s[8:9], vcc, s[8:9]
	v_add_co_u32_e32 v5, vcc, 2, v5
	v_addc_co_u32_e32 v6, vcc, 0, v6, vcc
	s_andn2_b64 exec, exec, s[8:9]
	s_cbranch_execz .LBB13_17
.LBB13_4:                               ; =>This Inner Loop Header: Depth=1
	global_load_dwordx2 v[9:10], v[3:4], off
	s_and_b64 vcc, exec, s[4:5]
	s_mov_b64 s[16:17], -1
                                        ; implicit-def: $sgpr10_sgpr11
	s_waitcnt vmcnt(0)
	v_subrev_co_u32_e64 v9, s[0:1], s12, v9
	v_subbrev_co_u32_e64 v10, s[0:1], 0, v10, s[0:1]
	s_cbranch_vccz .LBB13_10
; %bb.5:                                ;   in Loop: Header=BB13_4 Depth=1
	s_mov_b64 s[0:1], -1
	s_and_b64 vcc, exec, s[14:15]
                                        ; implicit-def: $sgpr10_sgpr11
	s_cbranch_vccz .LBB13_7
; %bb.6:                                ;   in Loop: Header=BB13_4 Depth=1
	v_cmp_ge_i64_e64 s[10:11], v[9:10], v[0:1]
	s_mov_b64 s[0:1], 0
.LBB13_7:                               ;   in Loop: Header=BB13_4 Depth=1
	s_andn2_b64 vcc, exec, s[0:1]
	s_cbranch_vccnz .LBB13_9
; %bb.8:                                ;   in Loop: Header=BB13_4 Depth=1
	v_cmp_gt_i64_e32 vcc, v[9:10], v[0:1]
	s_andn2_b64 s[0:1], s[10:11], exec
	s_and_b64 s[10:11], vcc, exec
	s_or_b64 s[10:11], s[0:1], s[10:11]
.LBB13_9:                               ;   in Loop: Header=BB13_4 Depth=1
	s_mov_b64 s[16:17], 0
.LBB13_10:                              ;   in Loop: Header=BB13_4 Depth=1
	s_andn2_b64 vcc, exec, s[16:17]
	s_cbranch_vccnz .LBB13_15
; %bb.11:                               ;   in Loop: Header=BB13_4 Depth=1
	s_mov_b64 s[0:1], -1
	s_and_b64 vcc, exec, s[14:15]
                                        ; implicit-def: $sgpr10_sgpr11
	s_cbranch_vccz .LBB13_13
; %bb.12:                               ;   in Loop: Header=BB13_4 Depth=1
	v_cmp_le_i64_e64 s[10:11], v[9:10], v[0:1]
	s_mov_b64 s[0:1], 0
.LBB13_13:                              ;   in Loop: Header=BB13_4 Depth=1
	s_andn2_b64 vcc, exec, s[0:1]
	s_cbranch_vccnz .LBB13_15
; %bb.14:                               ;   in Loop: Header=BB13_4 Depth=1
	v_cmp_lt_i64_e32 vcc, v[9:10], v[0:1]
	s_andn2_b64 s[0:1], s[10:11], exec
	s_and_b64 s[10:11], vcc, exec
	s_or_b64 s[10:11], s[0:1], s[10:11]
.LBB13_15:                              ;   in Loop: Header=BB13_4 Depth=1
	s_and_saveexec_b64 s[0:1], s[10:11]
	s_cbranch_execz .LBB13_3
; %bb.16:                               ;   in Loop: Header=BB13_4 Depth=1
	global_load_ushort v14, v[5:6], off
	v_ashrrev_i32_e32 v8, 31, v7
	v_add_co_u32_e32 v9, vcc, s18, v9
	v_lshlrev_b64 v[12:13], 1, v[7:8]
	v_addc_co_u32_e32 v10, vcc, 0, v10, vcc
	v_add_u32_e32 v15, 1, v7
	v_mov_b32_e32 v16, s7
	v_lshlrev_b64 v[7:8], 3, v[7:8]
	v_add_co_u32_e32 v12, vcc, s6, v12
	v_addc_co_u32_e32 v13, vcc, v16, v13, vcc
	v_mov_b32_e32 v17, s3
	v_add_co_u32_e32 v7, vcc, s2, v7
	v_addc_co_u32_e32 v8, vcc, v17, v8, vcc
	global_store_dwordx2 v[7:8], v[9:10], off
	s_waitcnt vmcnt(1)
	global_store_short v[12:13], v14, off
	v_mov_b32_e32 v7, v15
	s_branch .LBB13_3
.LBB13_17:
	s_endpgm
	.section	.rodata,"a",@progbits
	.p2align	6, 0x0
	.amdhsa_kernel _ZN9rocsparseL28internal_extract_fill_kernelILj1024E18rocsparse_bfloat16ilEEvT2_PKT1_PKS2_PKT0_21rocsparse_index_base_b20rocsparse_diag_type_S5_PS2_PS8_SB_
		.amdhsa_group_segment_fixed_size 0
		.amdhsa_private_segment_fixed_size 0
		.amdhsa_kernarg_size 336
		.amdhsa_user_sgpr_count 6
		.amdhsa_user_sgpr_private_segment_buffer 1
		.amdhsa_user_sgpr_dispatch_ptr 0
		.amdhsa_user_sgpr_queue_ptr 0
		.amdhsa_user_sgpr_kernarg_segment_ptr 1
		.amdhsa_user_sgpr_dispatch_id 0
		.amdhsa_user_sgpr_flat_scratch_init 0
		.amdhsa_user_sgpr_private_segment_size 0
		.amdhsa_uses_dynamic_stack 0
		.amdhsa_system_sgpr_private_segment_wavefront_offset 0
		.amdhsa_system_sgpr_workgroup_id_x 1
		.amdhsa_system_sgpr_workgroup_id_y 0
		.amdhsa_system_sgpr_workgroup_id_z 0
		.amdhsa_system_sgpr_workgroup_info 0
		.amdhsa_system_vgpr_workitem_id 0
		.amdhsa_next_free_vgpr 18
		.amdhsa_next_free_sgpr 19
		.amdhsa_reserve_vcc 1
		.amdhsa_reserve_flat_scratch 0
		.amdhsa_float_round_mode_32 0
		.amdhsa_float_round_mode_16_64 0
		.amdhsa_float_denorm_mode_32 3
		.amdhsa_float_denorm_mode_16_64 3
		.amdhsa_dx10_clamp 1
		.amdhsa_ieee_mode 1
		.amdhsa_fp16_overflow 0
		.amdhsa_exception_fp_ieee_invalid_op 0
		.amdhsa_exception_fp_denorm_src 0
		.amdhsa_exception_fp_ieee_div_zero 0
		.amdhsa_exception_fp_ieee_overflow 0
		.amdhsa_exception_fp_ieee_underflow 0
		.amdhsa_exception_fp_ieee_inexact 0
		.amdhsa_exception_int_div_zero 0
	.end_amdhsa_kernel
	.section	.text._ZN9rocsparseL28internal_extract_fill_kernelILj1024E18rocsparse_bfloat16ilEEvT2_PKT1_PKS2_PKT0_21rocsparse_index_base_b20rocsparse_diag_type_S5_PS2_PS8_SB_,"axG",@progbits,_ZN9rocsparseL28internal_extract_fill_kernelILj1024E18rocsparse_bfloat16ilEEvT2_PKT1_PKS2_PKT0_21rocsparse_index_base_b20rocsparse_diag_type_S5_PS2_PS8_SB_,comdat
.Lfunc_end13:
	.size	_ZN9rocsparseL28internal_extract_fill_kernelILj1024E18rocsparse_bfloat16ilEEvT2_PKT1_PKS2_PKT0_21rocsparse_index_base_b20rocsparse_diag_type_S5_PS2_PS8_SB_, .Lfunc_end13-_ZN9rocsparseL28internal_extract_fill_kernelILj1024E18rocsparse_bfloat16ilEEvT2_PKT1_PKS2_PKT0_21rocsparse_index_base_b20rocsparse_diag_type_S5_PS2_PS8_SB_
                                        ; -- End function
	.set _ZN9rocsparseL28internal_extract_fill_kernelILj1024E18rocsparse_bfloat16ilEEvT2_PKT1_PKS2_PKT0_21rocsparse_index_base_b20rocsparse_diag_type_S5_PS2_PS8_SB_.num_vgpr, 18
	.set _ZN9rocsparseL28internal_extract_fill_kernelILj1024E18rocsparse_bfloat16ilEEvT2_PKT1_PKS2_PKT0_21rocsparse_index_base_b20rocsparse_diag_type_S5_PS2_PS8_SB_.num_agpr, 0
	.set _ZN9rocsparseL28internal_extract_fill_kernelILj1024E18rocsparse_bfloat16ilEEvT2_PKT1_PKS2_PKT0_21rocsparse_index_base_b20rocsparse_diag_type_S5_PS2_PS8_SB_.numbered_sgpr, 19
	.set _ZN9rocsparseL28internal_extract_fill_kernelILj1024E18rocsparse_bfloat16ilEEvT2_PKT1_PKS2_PKT0_21rocsparse_index_base_b20rocsparse_diag_type_S5_PS2_PS8_SB_.num_named_barrier, 0
	.set _ZN9rocsparseL28internal_extract_fill_kernelILj1024E18rocsparse_bfloat16ilEEvT2_PKT1_PKS2_PKT0_21rocsparse_index_base_b20rocsparse_diag_type_S5_PS2_PS8_SB_.private_seg_size, 0
	.set _ZN9rocsparseL28internal_extract_fill_kernelILj1024E18rocsparse_bfloat16ilEEvT2_PKT1_PKS2_PKT0_21rocsparse_index_base_b20rocsparse_diag_type_S5_PS2_PS8_SB_.uses_vcc, 1
	.set _ZN9rocsparseL28internal_extract_fill_kernelILj1024E18rocsparse_bfloat16ilEEvT2_PKT1_PKS2_PKT0_21rocsparse_index_base_b20rocsparse_diag_type_S5_PS2_PS8_SB_.uses_flat_scratch, 0
	.set _ZN9rocsparseL28internal_extract_fill_kernelILj1024E18rocsparse_bfloat16ilEEvT2_PKT1_PKS2_PKT0_21rocsparse_index_base_b20rocsparse_diag_type_S5_PS2_PS8_SB_.has_dyn_sized_stack, 0
	.set _ZN9rocsparseL28internal_extract_fill_kernelILj1024E18rocsparse_bfloat16ilEEvT2_PKT1_PKS2_PKT0_21rocsparse_index_base_b20rocsparse_diag_type_S5_PS2_PS8_SB_.has_recursion, 0
	.set _ZN9rocsparseL28internal_extract_fill_kernelILj1024E18rocsparse_bfloat16ilEEvT2_PKT1_PKS2_PKT0_21rocsparse_index_base_b20rocsparse_diag_type_S5_PS2_PS8_SB_.has_indirect_call, 0
	.section	.AMDGPU.csdata,"",@progbits
; Kernel info:
; codeLenInByte = 548
; TotalNumSgprs: 23
; NumVgprs: 18
; ScratchSize: 0
; MemoryBound: 0
; FloatMode: 240
; IeeeMode: 1
; LDSByteSize: 0 bytes/workgroup (compile time only)
; SGPRBlocks: 2
; VGPRBlocks: 4
; NumSGPRsForWavesPerEU: 23
; NumVGPRsForWavesPerEU: 18
; Occupancy: 10
; WaveLimiterHint : 0
; COMPUTE_PGM_RSRC2:SCRATCH_EN: 0
; COMPUTE_PGM_RSRC2:USER_SGPR: 6
; COMPUTE_PGM_RSRC2:TRAP_HANDLER: 0
; COMPUTE_PGM_RSRC2:TGID_X_EN: 1
; COMPUTE_PGM_RSRC2:TGID_Y_EN: 0
; COMPUTE_PGM_RSRC2:TGID_Z_EN: 0
; COMPUTE_PGM_RSRC2:TIDIG_COMP_CNT: 0
	.section	.text._ZN9rocsparseL28internal_extract_fill_kernelILj1024E18rocsparse_bfloat16liEEvT2_PKT1_PKS2_PKT0_21rocsparse_index_base_b20rocsparse_diag_type_S5_PS2_PS8_SB_,"axG",@progbits,_ZN9rocsparseL28internal_extract_fill_kernelILj1024E18rocsparse_bfloat16liEEvT2_PKT1_PKS2_PKT0_21rocsparse_index_base_b20rocsparse_diag_type_S5_PS2_PS8_SB_,comdat
	.globl	_ZN9rocsparseL28internal_extract_fill_kernelILj1024E18rocsparse_bfloat16liEEvT2_PKT1_PKS2_PKT0_21rocsparse_index_base_b20rocsparse_diag_type_S5_PS2_PS8_SB_ ; -- Begin function _ZN9rocsparseL28internal_extract_fill_kernelILj1024E18rocsparse_bfloat16liEEvT2_PKT1_PKS2_PKT0_21rocsparse_index_base_b20rocsparse_diag_type_S5_PS2_PS8_SB_
	.p2align	8
	.type	_ZN9rocsparseL28internal_extract_fill_kernelILj1024E18rocsparse_bfloat16liEEvT2_PKT1_PKS2_PKT0_21rocsparse_index_base_b20rocsparse_diag_type_S5_PS2_PS8_SB_,@function
_ZN9rocsparseL28internal_extract_fill_kernelILj1024E18rocsparse_bfloat16liEEvT2_PKT1_PKS2_PKT0_21rocsparse_index_base_b20rocsparse_diag_type_S5_PS2_PS8_SB_: ; @_ZN9rocsparseL28internal_extract_fill_kernelILj1024E18rocsparse_bfloat16liEEvT2_PKT1_PKS2_PKT0_21rocsparse_index_base_b20rocsparse_diag_type_S5_PS2_PS8_SB_
; %bb.0:
	s_load_dword s0, s[4:5], 0x0
	s_load_dword s2, s[4:5], 0x5c
	v_mov_b32_e32 v5, 0
	s_waitcnt lgkmcnt(0)
	s_ashr_i32 s1, s0, 31
	s_and_b32 s2, s2, 0xffff
	s_mul_i32 s6, s6, s2
	v_add_u32_e32 v4, s6, v0
	v_cmp_gt_i64_e32 vcc, s[0:1], v[4:5]
	s_and_saveexec_b64 s[0:1], vcc
	s_cbranch_execz .LBB14_17
; %bb.1:
	s_load_dwordx2 s[0:1], s[4:5], 0x8
	v_lshlrev_b64 v[5:6], 3, v[4:5]
	s_waitcnt lgkmcnt(0)
	v_mov_b32_e32 v1, s1
	v_add_co_u32_e32 v0, vcc, s0, v5
	v_addc_co_u32_e32 v1, vcc, v1, v6, vcc
	global_load_dwordx4 v[0:3], v[0:1], off
	s_waitcnt vmcnt(0)
	v_cmp_lt_i64_e32 vcc, v[0:1], v[2:3]
	s_and_b64 exec, exec, vcc
	s_cbranch_execz .LBB14_17
; %bb.2:
	s_load_dwordx4 s[0:3], s[4:5], 0x30
	s_waitcnt lgkmcnt(0)
	v_mov_b32_e32 v7, s1
	v_add_co_u32_e32 v5, vcc, s0, v5
	v_addc_co_u32_e32 v6, vcc, v7, v6, vcc
	global_load_dwordx2 v[9:10], v[5:6], off
	s_load_dwordx2 s[6:7], s[4:5], 0x40
	s_load_dwordx8 s[8:15], s[4:5], 0x10
	s_load_dword s16, s[4:5], 0x48
	s_mov_b32 s1, 0
	v_lshlrev_b64 v[5:6], 1, v[0:1]
	v_lshlrev_b64 v[7:8], 2, v[0:1]
	s_waitcnt lgkmcnt(0)
	s_bitcmp1_b32 s13, 0
	v_subrev_co_u32_e32 v2, vcc, s12, v2
	s_cselect_b64 s[4:5], -1, 0
	v_subbrev_co_u32_e32 v3, vcc, 0, v3, vcc
	s_xor_b64 s[4:5], s[4:5], -1
	s_mov_b32 s0, s12
	v_subrev_co_u32_e32 v0, vcc, s12, v0
	s_cmp_lg_u32 s14, 1
	v_subbrev_co_u32_e32 v1, vcc, 0, v1, vcc
	s_cselect_b64 s[14:15], -1, 0
	s_lshl_b64 s[18:19], s[0:1], 1
	v_mov_b32_e32 v13, s19
	v_subrev_co_u32_e32 v5, vcc, s18, v5
	s_lshl_b64 s[0:1], s[0:1], 2
	v_subb_co_u32_e32 v6, vcc, v6, v13, vcc
	v_mov_b32_e32 v14, s1
	v_subrev_co_u32_e32 v7, vcc, s0, v7
	v_subb_co_u32_e32 v8, vcc, v8, v14, vcc
	v_mov_b32_e32 v11, s11
	v_add_co_u32_e32 v5, vcc, s10, v5
	v_addc_co_u32_e32 v6, vcc, v11, v6, vcc
	v_mov_b32_e32 v12, s9
	v_add_co_u32_e32 v7, vcc, s8, v7
	v_addc_co_u32_e32 v8, vcc, v12, v8, vcc
	s_mov_b64 s[8:9], 0
	s_waitcnt vmcnt(0)
	v_subrev_co_u32_e32 v9, vcc, s16, v9
	v_subbrev_co_u32_e32 v10, vcc, 0, v10, vcc
	s_branch .LBB14_4
.LBB14_3:                               ;   in Loop: Header=BB14_4 Depth=1
	s_or_b64 exec, exec, s[10:11]
	v_add_co_u32_e32 v0, vcc, 1, v0
	v_addc_co_u32_e32 v1, vcc, 0, v1, vcc
	v_cmp_ge_i64_e32 vcc, v[0:1], v[2:3]
	v_add_co_u32_e64 v5, s[0:1], 2, v5
	s_or_b64 s[8:9], vcc, s[8:9]
	v_add_co_u32_e32 v7, vcc, 4, v7
	v_addc_co_u32_e64 v6, s[0:1], 0, v6, s[0:1]
	v_addc_co_u32_e32 v8, vcc, 0, v8, vcc
	s_andn2_b64 exec, exec, s[8:9]
	s_cbranch_execz .LBB14_17
.LBB14_4:                               ; =>This Inner Loop Header: Depth=1
	global_load_dword v11, v[7:8], off
	s_and_b64 vcc, exec, s[4:5]
	s_mov_b64 s[10:11], -1
                                        ; implicit-def: $sgpr0_sgpr1
	s_waitcnt vmcnt(0)
	v_subrev_u32_e32 v11, s12, v11
	s_cbranch_vccz .LBB14_10
; %bb.5:                                ;   in Loop: Header=BB14_4 Depth=1
	s_and_b64 vcc, exec, s[14:15]
                                        ; implicit-def: $sgpr0_sgpr1
	s_cbranch_vccz .LBB14_7
; %bb.6:                                ;   in Loop: Header=BB14_4 Depth=1
	v_cmp_le_i32_e64 s[0:1], v4, v11
	s_mov_b64 s[10:11], 0
.LBB14_7:                               ;   in Loop: Header=BB14_4 Depth=1
	s_andn2_b64 vcc, exec, s[10:11]
	s_cbranch_vccnz .LBB14_9
; %bb.8:                                ;   in Loop: Header=BB14_4 Depth=1
	v_cmp_lt_i32_e32 vcc, v4, v11
	s_andn2_b64 s[0:1], s[0:1], exec
	s_and_b64 s[10:11], vcc, exec
	s_or_b64 s[0:1], s[0:1], s[10:11]
.LBB14_9:                               ;   in Loop: Header=BB14_4 Depth=1
	s_mov_b64 s[10:11], 0
.LBB14_10:                              ;   in Loop: Header=BB14_4 Depth=1
	s_andn2_b64 vcc, exec, s[10:11]
	s_cbranch_vccnz .LBB14_15
; %bb.11:                               ;   in Loop: Header=BB14_4 Depth=1
	s_mov_b64 s[10:11], -1
	s_and_b64 vcc, exec, s[14:15]
                                        ; implicit-def: $sgpr0_sgpr1
	s_cbranch_vccz .LBB14_13
; %bb.12:                               ;   in Loop: Header=BB14_4 Depth=1
	v_cmp_ge_i32_e64 s[0:1], v4, v11
	s_mov_b64 s[10:11], 0
.LBB14_13:                              ;   in Loop: Header=BB14_4 Depth=1
	s_andn2_b64 vcc, exec, s[10:11]
	s_cbranch_vccnz .LBB14_15
; %bb.14:                               ;   in Loop: Header=BB14_4 Depth=1
	v_cmp_gt_i32_e32 vcc, v4, v11
	s_andn2_b64 s[0:1], s[0:1], exec
	s_and_b64 s[10:11], vcc, exec
	s_or_b64 s[0:1], s[0:1], s[10:11]
.LBB14_15:                              ;   in Loop: Header=BB14_4 Depth=1
	s_and_saveexec_b64 s[10:11], s[0:1]
	s_cbranch_execz .LBB14_3
; %bb.16:                               ;   in Loop: Header=BB14_4 Depth=1
	global_load_ushort v16, v[5:6], off
	v_add_co_u32_e32 v12, vcc, 1, v9
	v_lshlrev_b64 v[14:15], 1, v[9:10]
	v_addc_co_u32_e32 v13, vcc, 0, v10, vcc
	v_mov_b32_e32 v17, s7
	v_lshlrev_b64 v[9:10], 2, v[9:10]
	v_add_co_u32_e32 v14, vcc, s6, v14
	v_addc_co_u32_e32 v15, vcc, v17, v15, vcc
	v_mov_b32_e32 v18, s3
	v_add_co_u32_e32 v9, vcc, s2, v9
	v_add_u32_e32 v11, s16, v11
	v_addc_co_u32_e32 v10, vcc, v18, v10, vcc
	global_store_dword v[9:10], v11, off
	s_waitcnt vmcnt(1)
	global_store_short v[14:15], v16, off
	v_mov_b32_e32 v9, v12
	v_mov_b32_e32 v10, v13
	s_branch .LBB14_3
.LBB14_17:
	s_endpgm
	.section	.rodata,"a",@progbits
	.p2align	6, 0x0
	.amdhsa_kernel _ZN9rocsparseL28internal_extract_fill_kernelILj1024E18rocsparse_bfloat16liEEvT2_PKT1_PKS2_PKT0_21rocsparse_index_base_b20rocsparse_diag_type_S5_PS2_PS8_SB_
		.amdhsa_group_segment_fixed_size 0
		.amdhsa_private_segment_fixed_size 0
		.amdhsa_kernarg_size 336
		.amdhsa_user_sgpr_count 6
		.amdhsa_user_sgpr_private_segment_buffer 1
		.amdhsa_user_sgpr_dispatch_ptr 0
		.amdhsa_user_sgpr_queue_ptr 0
		.amdhsa_user_sgpr_kernarg_segment_ptr 1
		.amdhsa_user_sgpr_dispatch_id 0
		.amdhsa_user_sgpr_flat_scratch_init 0
		.amdhsa_user_sgpr_private_segment_size 0
		.amdhsa_uses_dynamic_stack 0
		.amdhsa_system_sgpr_private_segment_wavefront_offset 0
		.amdhsa_system_sgpr_workgroup_id_x 1
		.amdhsa_system_sgpr_workgroup_id_y 0
		.amdhsa_system_sgpr_workgroup_id_z 0
		.amdhsa_system_sgpr_workgroup_info 0
		.amdhsa_system_vgpr_workitem_id 0
		.amdhsa_next_free_vgpr 19
		.amdhsa_next_free_sgpr 20
		.amdhsa_reserve_vcc 1
		.amdhsa_reserve_flat_scratch 0
		.amdhsa_float_round_mode_32 0
		.amdhsa_float_round_mode_16_64 0
		.amdhsa_float_denorm_mode_32 3
		.amdhsa_float_denorm_mode_16_64 3
		.amdhsa_dx10_clamp 1
		.amdhsa_ieee_mode 1
		.amdhsa_fp16_overflow 0
		.amdhsa_exception_fp_ieee_invalid_op 0
		.amdhsa_exception_fp_denorm_src 0
		.amdhsa_exception_fp_ieee_div_zero 0
		.amdhsa_exception_fp_ieee_overflow 0
		.amdhsa_exception_fp_ieee_underflow 0
		.amdhsa_exception_fp_ieee_inexact 0
		.amdhsa_exception_int_div_zero 0
	.end_amdhsa_kernel
	.section	.text._ZN9rocsparseL28internal_extract_fill_kernelILj1024E18rocsparse_bfloat16liEEvT2_PKT1_PKS2_PKT0_21rocsparse_index_base_b20rocsparse_diag_type_S5_PS2_PS8_SB_,"axG",@progbits,_ZN9rocsparseL28internal_extract_fill_kernelILj1024E18rocsparse_bfloat16liEEvT2_PKT1_PKS2_PKT0_21rocsparse_index_base_b20rocsparse_diag_type_S5_PS2_PS8_SB_,comdat
.Lfunc_end14:
	.size	_ZN9rocsparseL28internal_extract_fill_kernelILj1024E18rocsparse_bfloat16liEEvT2_PKT1_PKS2_PKT0_21rocsparse_index_base_b20rocsparse_diag_type_S5_PS2_PS8_SB_, .Lfunc_end14-_ZN9rocsparseL28internal_extract_fill_kernelILj1024E18rocsparse_bfloat16liEEvT2_PKT1_PKS2_PKT0_21rocsparse_index_base_b20rocsparse_diag_type_S5_PS2_PS8_SB_
                                        ; -- End function
	.set _ZN9rocsparseL28internal_extract_fill_kernelILj1024E18rocsparse_bfloat16liEEvT2_PKT1_PKS2_PKT0_21rocsparse_index_base_b20rocsparse_diag_type_S5_PS2_PS8_SB_.num_vgpr, 19
	.set _ZN9rocsparseL28internal_extract_fill_kernelILj1024E18rocsparse_bfloat16liEEvT2_PKT1_PKS2_PKT0_21rocsparse_index_base_b20rocsparse_diag_type_S5_PS2_PS8_SB_.num_agpr, 0
	.set _ZN9rocsparseL28internal_extract_fill_kernelILj1024E18rocsparse_bfloat16liEEvT2_PKT1_PKS2_PKT0_21rocsparse_index_base_b20rocsparse_diag_type_S5_PS2_PS8_SB_.numbered_sgpr, 20
	.set _ZN9rocsparseL28internal_extract_fill_kernelILj1024E18rocsparse_bfloat16liEEvT2_PKT1_PKS2_PKT0_21rocsparse_index_base_b20rocsparse_diag_type_S5_PS2_PS8_SB_.num_named_barrier, 0
	.set _ZN9rocsparseL28internal_extract_fill_kernelILj1024E18rocsparse_bfloat16liEEvT2_PKT1_PKS2_PKT0_21rocsparse_index_base_b20rocsparse_diag_type_S5_PS2_PS8_SB_.private_seg_size, 0
	.set _ZN9rocsparseL28internal_extract_fill_kernelILj1024E18rocsparse_bfloat16liEEvT2_PKT1_PKS2_PKT0_21rocsparse_index_base_b20rocsparse_diag_type_S5_PS2_PS8_SB_.uses_vcc, 1
	.set _ZN9rocsparseL28internal_extract_fill_kernelILj1024E18rocsparse_bfloat16liEEvT2_PKT1_PKS2_PKT0_21rocsparse_index_base_b20rocsparse_diag_type_S5_PS2_PS8_SB_.uses_flat_scratch, 0
	.set _ZN9rocsparseL28internal_extract_fill_kernelILj1024E18rocsparse_bfloat16liEEvT2_PKT1_PKS2_PKT0_21rocsparse_index_base_b20rocsparse_diag_type_S5_PS2_PS8_SB_.has_dyn_sized_stack, 0
	.set _ZN9rocsparseL28internal_extract_fill_kernelILj1024E18rocsparse_bfloat16liEEvT2_PKT1_PKS2_PKT0_21rocsparse_index_base_b20rocsparse_diag_type_S5_PS2_PS8_SB_.has_recursion, 0
	.set _ZN9rocsparseL28internal_extract_fill_kernelILj1024E18rocsparse_bfloat16liEEvT2_PKT1_PKS2_PKT0_21rocsparse_index_base_b20rocsparse_diag_type_S5_PS2_PS8_SB_.has_indirect_call, 0
	.section	.AMDGPU.csdata,"",@progbits
; Kernel info:
; codeLenInByte = 596
; TotalNumSgprs: 24
; NumVgprs: 19
; ScratchSize: 0
; MemoryBound: 0
; FloatMode: 240
; IeeeMode: 1
; LDSByteSize: 0 bytes/workgroup (compile time only)
; SGPRBlocks: 2
; VGPRBlocks: 4
; NumSGPRsForWavesPerEU: 24
; NumVGPRsForWavesPerEU: 19
; Occupancy: 10
; WaveLimiterHint : 0
; COMPUTE_PGM_RSRC2:SCRATCH_EN: 0
; COMPUTE_PGM_RSRC2:USER_SGPR: 6
; COMPUTE_PGM_RSRC2:TRAP_HANDLER: 0
; COMPUTE_PGM_RSRC2:TGID_X_EN: 1
; COMPUTE_PGM_RSRC2:TGID_Y_EN: 0
; COMPUTE_PGM_RSRC2:TGID_Z_EN: 0
; COMPUTE_PGM_RSRC2:TIDIG_COMP_CNT: 0
	.section	.text._ZN9rocsparseL28internal_extract_fill_kernelILj1024E18rocsparse_bfloat16llEEvT2_PKT1_PKS2_PKT0_21rocsparse_index_base_b20rocsparse_diag_type_S5_PS2_PS8_SB_,"axG",@progbits,_ZN9rocsparseL28internal_extract_fill_kernelILj1024E18rocsparse_bfloat16llEEvT2_PKT1_PKS2_PKT0_21rocsparse_index_base_b20rocsparse_diag_type_S5_PS2_PS8_SB_,comdat
	.globl	_ZN9rocsparseL28internal_extract_fill_kernelILj1024E18rocsparse_bfloat16llEEvT2_PKT1_PKS2_PKT0_21rocsparse_index_base_b20rocsparse_diag_type_S5_PS2_PS8_SB_ ; -- Begin function _ZN9rocsparseL28internal_extract_fill_kernelILj1024E18rocsparse_bfloat16llEEvT2_PKT1_PKS2_PKT0_21rocsparse_index_base_b20rocsparse_diag_type_S5_PS2_PS8_SB_
	.p2align	8
	.type	_ZN9rocsparseL28internal_extract_fill_kernelILj1024E18rocsparse_bfloat16llEEvT2_PKT1_PKS2_PKT0_21rocsparse_index_base_b20rocsparse_diag_type_S5_PS2_PS8_SB_,@function
_ZN9rocsparseL28internal_extract_fill_kernelILj1024E18rocsparse_bfloat16llEEvT2_PKT1_PKS2_PKT0_21rocsparse_index_base_b20rocsparse_diag_type_S5_PS2_PS8_SB_: ; @_ZN9rocsparseL28internal_extract_fill_kernelILj1024E18rocsparse_bfloat16llEEvT2_PKT1_PKS2_PKT0_21rocsparse_index_base_b20rocsparse_diag_type_S5_PS2_PS8_SB_
; %bb.0:
	s_load_dword s2, s[4:5], 0x5c
	s_load_dwordx2 s[0:1], s[4:5], 0x0
	v_mov_b32_e32 v5, 0
	s_waitcnt lgkmcnt(0)
	s_and_b32 s2, s2, 0xffff
	s_mul_i32 s6, s6, s2
	v_add_u32_e32 v4, s6, v0
	v_cmp_gt_i64_e32 vcc, s[0:1], v[4:5]
	s_and_saveexec_b64 s[0:1], vcc
	s_cbranch_execz .LBB15_17
; %bb.1:
	s_load_dwordx2 s[0:1], s[4:5], 0x8
	v_lshlrev_b64 v[6:7], 3, v[4:5]
	s_waitcnt lgkmcnt(0)
	v_mov_b32_e32 v1, s1
	v_add_co_u32_e32 v0, vcc, s0, v6
	v_addc_co_u32_e32 v1, vcc, v1, v7, vcc
	global_load_dwordx4 v[0:3], v[0:1], off
	s_waitcnt vmcnt(0)
	v_cmp_lt_i64_e32 vcc, v[0:1], v[2:3]
	s_and_b64 exec, exec, vcc
	s_cbranch_execz .LBB15_17
; %bb.2:
	s_load_dwordx4 s[0:3], s[4:5], 0x30
	s_waitcnt lgkmcnt(0)
	v_mov_b32_e32 v8, s1
	v_add_co_u32_e32 v6, vcc, s0, v6
	v_addc_co_u32_e32 v7, vcc, v8, v7, vcc
	global_load_dwordx2 v[10:11], v[6:7], off
	s_load_dwordx2 s[6:7], s[4:5], 0x40
	s_load_dwordx8 s[8:15], s[4:5], 0x10
	s_load_dword s18, s[4:5], 0x48
	v_lshlrev_b64 v[6:7], 1, v[0:1]
	v_lshlrev_b64 v[8:9], 3, v[0:1]
	s_mov_b32 s5, 0
	s_waitcnt lgkmcnt(0)
	v_subrev_co_u32_e32 v2, vcc, s12, v2
	s_bitcmp1_b32 s13, 0
	v_subbrev_co_u32_e32 v3, vcc, 0, v3, vcc
	s_cselect_b64 s[0:1], -1, 0
	s_mov_b32 s4, s12
	v_subrev_co_u32_e32 v0, vcc, s12, v0
	s_xor_b64 s[12:13], s[0:1], -1
	s_cmp_lg_u32 s14, 1
	v_subbrev_co_u32_e32 v1, vcc, 0, v1, vcc
	s_cselect_b64 s[14:15], -1, 0
	s_lshl_b64 s[0:1], s[4:5], 1
	v_mov_b32_e32 v14, s1
	v_subrev_co_u32_e32 v6, vcc, s0, v6
	s_lshl_b64 s[16:17], s[4:5], 3
	v_subb_co_u32_e32 v7, vcc, v7, v14, vcc
	v_mov_b32_e32 v15, s17
	v_subrev_co_u32_e32 v8, vcc, s16, v8
	v_subb_co_u32_e32 v9, vcc, v9, v15, vcc
	v_mov_b32_e32 v12, s11
	v_add_co_u32_e32 v6, vcc, s10, v6
	v_addc_co_u32_e32 v7, vcc, v12, v7, vcc
	v_mov_b32_e32 v13, s9
	v_add_co_u32_e32 v8, vcc, s8, v8
	v_addc_co_u32_e32 v9, vcc, v13, v9, vcc
	s_mov_b64 s[8:9], 0
	s_waitcnt vmcnt(0)
	v_subrev_co_u32_e32 v10, vcc, s18, v10
	v_subbrev_co_u32_e32 v11, vcc, 0, v11, vcc
	s_branch .LBB15_4
.LBB15_3:                               ;   in Loop: Header=BB15_4 Depth=1
	s_or_b64 exec, exec, s[0:1]
	v_add_co_u32_e32 v0, vcc, 1, v0
	v_addc_co_u32_e32 v1, vcc, 0, v1, vcc
	v_cmp_ge_i64_e32 vcc, v[0:1], v[2:3]
	v_add_co_u32_e64 v6, s[0:1], 2, v6
	s_or_b64 s[8:9], vcc, s[8:9]
	v_add_co_u32_e32 v8, vcc, 8, v8
	v_addc_co_u32_e64 v7, s[0:1], 0, v7, s[0:1]
	v_addc_co_u32_e32 v9, vcc, 0, v9, vcc
	s_andn2_b64 exec, exec, s[8:9]
	s_cbranch_execz .LBB15_17
.LBB15_4:                               ; =>This Inner Loop Header: Depth=1
	global_load_dwordx2 v[12:13], v[8:9], off
	s_and_b64 vcc, exec, s[12:13]
	s_mov_b64 s[16:17], -1
                                        ; implicit-def: $sgpr10_sgpr11
	s_waitcnt vmcnt(0)
	v_subrev_co_u32_e64 v12, s[0:1], s4, v12
	v_subbrev_co_u32_e64 v13, s[0:1], 0, v13, s[0:1]
	s_cbranch_vccz .LBB15_10
; %bb.5:                                ;   in Loop: Header=BB15_4 Depth=1
	s_mov_b64 s[0:1], -1
	s_and_b64 vcc, exec, s[14:15]
                                        ; implicit-def: $sgpr10_sgpr11
	s_cbranch_vccz .LBB15_7
; %bb.6:                                ;   in Loop: Header=BB15_4 Depth=1
	v_cmp_ge_i64_e64 s[10:11], v[12:13], v[4:5]
	s_mov_b64 s[0:1], 0
.LBB15_7:                               ;   in Loop: Header=BB15_4 Depth=1
	s_andn2_b64 vcc, exec, s[0:1]
	s_cbranch_vccnz .LBB15_9
; %bb.8:                                ;   in Loop: Header=BB15_4 Depth=1
	v_cmp_gt_i64_e32 vcc, v[12:13], v[4:5]
	s_andn2_b64 s[0:1], s[10:11], exec
	s_and_b64 s[10:11], vcc, exec
	s_or_b64 s[10:11], s[0:1], s[10:11]
.LBB15_9:                               ;   in Loop: Header=BB15_4 Depth=1
	s_mov_b64 s[16:17], 0
.LBB15_10:                              ;   in Loop: Header=BB15_4 Depth=1
	s_andn2_b64 vcc, exec, s[16:17]
	s_cbranch_vccnz .LBB15_15
; %bb.11:                               ;   in Loop: Header=BB15_4 Depth=1
	s_mov_b64 s[0:1], -1
	s_and_b64 vcc, exec, s[14:15]
                                        ; implicit-def: $sgpr10_sgpr11
	s_cbranch_vccz .LBB15_13
; %bb.12:                               ;   in Loop: Header=BB15_4 Depth=1
	v_cmp_le_i64_e64 s[10:11], v[12:13], v[4:5]
	s_mov_b64 s[0:1], 0
.LBB15_13:                              ;   in Loop: Header=BB15_4 Depth=1
	s_andn2_b64 vcc, exec, s[0:1]
	s_cbranch_vccnz .LBB15_15
; %bb.14:                               ;   in Loop: Header=BB15_4 Depth=1
	v_cmp_lt_i64_e32 vcc, v[12:13], v[4:5]
	s_andn2_b64 s[0:1], s[10:11], exec
	s_and_b64 s[10:11], vcc, exec
	s_or_b64 s[10:11], s[0:1], s[10:11]
.LBB15_15:                              ;   in Loop: Header=BB15_4 Depth=1
	s_and_saveexec_b64 s[0:1], s[10:11]
	s_cbranch_execz .LBB15_3
; %bb.16:                               ;   in Loop: Header=BB15_4 Depth=1
	global_load_ushort v18, v[6:7], off
	v_add_co_u32_e32 v14, vcc, 1, v10
	v_addc_co_u32_e32 v15, vcc, 0, v11, vcc
	v_lshlrev_b64 v[16:17], 1, v[10:11]
	v_add_co_u32_e32 v12, vcc, s18, v12
	v_addc_co_u32_e32 v13, vcc, 0, v13, vcc
	v_mov_b32_e32 v19, s7
	v_lshlrev_b64 v[10:11], 3, v[10:11]
	v_add_co_u32_e32 v16, vcc, s6, v16
	v_addc_co_u32_e32 v17, vcc, v19, v17, vcc
	v_mov_b32_e32 v20, s3
	v_add_co_u32_e32 v10, vcc, s2, v10
	v_addc_co_u32_e32 v11, vcc, v20, v11, vcc
	global_store_dwordx2 v[10:11], v[12:13], off
	s_waitcnt vmcnt(1)
	global_store_short v[16:17], v18, off
	v_mov_b32_e32 v10, v14
	v_mov_b32_e32 v11, v15
	s_branch .LBB15_3
.LBB15_17:
	s_endpgm
	.section	.rodata,"a",@progbits
	.p2align	6, 0x0
	.amdhsa_kernel _ZN9rocsparseL28internal_extract_fill_kernelILj1024E18rocsparse_bfloat16llEEvT2_PKT1_PKS2_PKT0_21rocsparse_index_base_b20rocsparse_diag_type_S5_PS2_PS8_SB_
		.amdhsa_group_segment_fixed_size 0
		.amdhsa_private_segment_fixed_size 0
		.amdhsa_kernarg_size 336
		.amdhsa_user_sgpr_count 6
		.amdhsa_user_sgpr_private_segment_buffer 1
		.amdhsa_user_sgpr_dispatch_ptr 0
		.amdhsa_user_sgpr_queue_ptr 0
		.amdhsa_user_sgpr_kernarg_segment_ptr 1
		.amdhsa_user_sgpr_dispatch_id 0
		.amdhsa_user_sgpr_flat_scratch_init 0
		.amdhsa_user_sgpr_private_segment_size 0
		.amdhsa_uses_dynamic_stack 0
		.amdhsa_system_sgpr_private_segment_wavefront_offset 0
		.amdhsa_system_sgpr_workgroup_id_x 1
		.amdhsa_system_sgpr_workgroup_id_y 0
		.amdhsa_system_sgpr_workgroup_id_z 0
		.amdhsa_system_sgpr_workgroup_info 0
		.amdhsa_system_vgpr_workitem_id 0
		.amdhsa_next_free_vgpr 21
		.amdhsa_next_free_sgpr 19
		.amdhsa_reserve_vcc 1
		.amdhsa_reserve_flat_scratch 0
		.amdhsa_float_round_mode_32 0
		.amdhsa_float_round_mode_16_64 0
		.amdhsa_float_denorm_mode_32 3
		.amdhsa_float_denorm_mode_16_64 3
		.amdhsa_dx10_clamp 1
		.amdhsa_ieee_mode 1
		.amdhsa_fp16_overflow 0
		.amdhsa_exception_fp_ieee_invalid_op 0
		.amdhsa_exception_fp_denorm_src 0
		.amdhsa_exception_fp_ieee_div_zero 0
		.amdhsa_exception_fp_ieee_overflow 0
		.amdhsa_exception_fp_ieee_underflow 0
		.amdhsa_exception_fp_ieee_inexact 0
		.amdhsa_exception_int_div_zero 0
	.end_amdhsa_kernel
	.section	.text._ZN9rocsparseL28internal_extract_fill_kernelILj1024E18rocsparse_bfloat16llEEvT2_PKT1_PKS2_PKT0_21rocsparse_index_base_b20rocsparse_diag_type_S5_PS2_PS8_SB_,"axG",@progbits,_ZN9rocsparseL28internal_extract_fill_kernelILj1024E18rocsparse_bfloat16llEEvT2_PKT1_PKS2_PKT0_21rocsparse_index_base_b20rocsparse_diag_type_S5_PS2_PS8_SB_,comdat
.Lfunc_end15:
	.size	_ZN9rocsparseL28internal_extract_fill_kernelILj1024E18rocsparse_bfloat16llEEvT2_PKT1_PKS2_PKT0_21rocsparse_index_base_b20rocsparse_diag_type_S5_PS2_PS8_SB_, .Lfunc_end15-_ZN9rocsparseL28internal_extract_fill_kernelILj1024E18rocsparse_bfloat16llEEvT2_PKT1_PKS2_PKT0_21rocsparse_index_base_b20rocsparse_diag_type_S5_PS2_PS8_SB_
                                        ; -- End function
	.set _ZN9rocsparseL28internal_extract_fill_kernelILj1024E18rocsparse_bfloat16llEEvT2_PKT1_PKS2_PKT0_21rocsparse_index_base_b20rocsparse_diag_type_S5_PS2_PS8_SB_.num_vgpr, 21
	.set _ZN9rocsparseL28internal_extract_fill_kernelILj1024E18rocsparse_bfloat16llEEvT2_PKT1_PKS2_PKT0_21rocsparse_index_base_b20rocsparse_diag_type_S5_PS2_PS8_SB_.num_agpr, 0
	.set _ZN9rocsparseL28internal_extract_fill_kernelILj1024E18rocsparse_bfloat16llEEvT2_PKT1_PKS2_PKT0_21rocsparse_index_base_b20rocsparse_diag_type_S5_PS2_PS8_SB_.numbered_sgpr, 19
	.set _ZN9rocsparseL28internal_extract_fill_kernelILj1024E18rocsparse_bfloat16llEEvT2_PKT1_PKS2_PKT0_21rocsparse_index_base_b20rocsparse_diag_type_S5_PS2_PS8_SB_.num_named_barrier, 0
	.set _ZN9rocsparseL28internal_extract_fill_kernelILj1024E18rocsparse_bfloat16llEEvT2_PKT1_PKS2_PKT0_21rocsparse_index_base_b20rocsparse_diag_type_S5_PS2_PS8_SB_.private_seg_size, 0
	.set _ZN9rocsparseL28internal_extract_fill_kernelILj1024E18rocsparse_bfloat16llEEvT2_PKT1_PKS2_PKT0_21rocsparse_index_base_b20rocsparse_diag_type_S5_PS2_PS8_SB_.uses_vcc, 1
	.set _ZN9rocsparseL28internal_extract_fill_kernelILj1024E18rocsparse_bfloat16llEEvT2_PKT1_PKS2_PKT0_21rocsparse_index_base_b20rocsparse_diag_type_S5_PS2_PS8_SB_.uses_flat_scratch, 0
	.set _ZN9rocsparseL28internal_extract_fill_kernelILj1024E18rocsparse_bfloat16llEEvT2_PKT1_PKS2_PKT0_21rocsparse_index_base_b20rocsparse_diag_type_S5_PS2_PS8_SB_.has_dyn_sized_stack, 0
	.set _ZN9rocsparseL28internal_extract_fill_kernelILj1024E18rocsparse_bfloat16llEEvT2_PKT1_PKS2_PKT0_21rocsparse_index_base_b20rocsparse_diag_type_S5_PS2_PS8_SB_.has_recursion, 0
	.set _ZN9rocsparseL28internal_extract_fill_kernelILj1024E18rocsparse_bfloat16llEEvT2_PKT1_PKS2_PKT0_21rocsparse_index_base_b20rocsparse_diag_type_S5_PS2_PS8_SB_.has_indirect_call, 0
	.section	.AMDGPU.csdata,"",@progbits
; Kernel info:
; codeLenInByte = 612
; TotalNumSgprs: 23
; NumVgprs: 21
; ScratchSize: 0
; MemoryBound: 0
; FloatMode: 240
; IeeeMode: 1
; LDSByteSize: 0 bytes/workgroup (compile time only)
; SGPRBlocks: 2
; VGPRBlocks: 5
; NumSGPRsForWavesPerEU: 23
; NumVGPRsForWavesPerEU: 21
; Occupancy: 10
; WaveLimiterHint : 0
; COMPUTE_PGM_RSRC2:SCRATCH_EN: 0
; COMPUTE_PGM_RSRC2:USER_SGPR: 6
; COMPUTE_PGM_RSRC2:TRAP_HANDLER: 0
; COMPUTE_PGM_RSRC2:TGID_X_EN: 1
; COMPUTE_PGM_RSRC2:TGID_Y_EN: 0
; COMPUTE_PGM_RSRC2:TGID_Z_EN: 0
; COMPUTE_PGM_RSRC2:TIDIG_COMP_CNT: 0
	.section	.text._ZN9rocsparseL28internal_extract_fill_kernelILj1024EfiiEEvT2_PKT1_PKS1_PKT0_21rocsparse_index_base_b20rocsparse_diag_type_S4_PS1_PS7_SA_,"axG",@progbits,_ZN9rocsparseL28internal_extract_fill_kernelILj1024EfiiEEvT2_PKT1_PKS1_PKT0_21rocsparse_index_base_b20rocsparse_diag_type_S4_PS1_PS7_SA_,comdat
	.globl	_ZN9rocsparseL28internal_extract_fill_kernelILj1024EfiiEEvT2_PKT1_PKS1_PKT0_21rocsparse_index_base_b20rocsparse_diag_type_S4_PS1_PS7_SA_ ; -- Begin function _ZN9rocsparseL28internal_extract_fill_kernelILj1024EfiiEEvT2_PKT1_PKS1_PKT0_21rocsparse_index_base_b20rocsparse_diag_type_S4_PS1_PS7_SA_
	.p2align	8
	.type	_ZN9rocsparseL28internal_extract_fill_kernelILj1024EfiiEEvT2_PKT1_PKS1_PKT0_21rocsparse_index_base_b20rocsparse_diag_type_S4_PS1_PS7_SA_,@function
_ZN9rocsparseL28internal_extract_fill_kernelILj1024EfiiEEvT2_PKT1_PKS1_PKT0_21rocsparse_index_base_b20rocsparse_diag_type_S4_PS1_PS7_SA_: ; @_ZN9rocsparseL28internal_extract_fill_kernelILj1024EfiiEEvT2_PKT1_PKS1_PKT0_21rocsparse_index_base_b20rocsparse_diag_type_S4_PS1_PS7_SA_
; %bb.0:
	s_load_dword s0, s[4:5], 0x5c
	s_load_dword s1, s[4:5], 0x0
	s_waitcnt lgkmcnt(0)
	s_and_b32 s0, s0, 0xffff
	s_mul_i32 s6, s6, s0
	v_add_u32_e32 v0, s6, v0
	v_cmp_gt_i32_e32 vcc, s1, v0
	s_and_saveexec_b64 s[0:1], vcc
	s_cbranch_execz .LBB16_17
; %bb.1:
	s_load_dwordx2 s[0:1], s[4:5], 0x8
	v_ashrrev_i32_e32 v1, 31, v0
	v_lshlrev_b64 v[3:4], 2, v[0:1]
	s_waitcnt lgkmcnt(0)
	v_mov_b32_e32 v2, s1
	v_add_co_u32_e32 v1, vcc, s0, v3
	v_addc_co_u32_e32 v2, vcc, v2, v4, vcc
	global_load_dwordx2 v[1:2], v[1:2], off
	s_waitcnt vmcnt(0)
	v_cmp_lt_i32_e32 vcc, v1, v2
	s_and_b64 exec, exec, vcc
	s_cbranch_execz .LBB16_17
; %bb.2:
	s_load_dwordx4 s[0:3], s[4:5], 0x30
	s_waitcnt lgkmcnt(0)
	v_mov_b32_e32 v5, s1
	v_add_co_u32_e32 v3, vcc, s0, v3
	v_addc_co_u32_e32 v4, vcc, v5, v4, vcc
	global_load_dword v6, v[3:4], off
	s_load_dwordx8 s[8:15], s[4:5], 0x10
	s_load_dwordx2 s[0:1], s[4:5], 0x40
	s_load_dword s16, s[4:5], 0x48
	s_waitcnt lgkmcnt(0)
	v_subrev_u32_e32 v1, s12, v1
	v_subrev_u32_e32 v8, s12, v2
	v_ashrrev_i32_e32 v2, 31, v1
	v_lshlrev_b64 v[4:5], 2, v[1:2]
	s_bitcmp1_b32 s13, 0
	v_mov_b32_e32 v3, s9
	s_cselect_b64 s[4:5], -1, 0
	v_add_co_u32_e32 v2, vcc, s8, v4
	s_xor_b64 s[4:5], s[4:5], -1
	v_addc_co_u32_e32 v3, vcc, v3, v5, vcc
	v_mov_b32_e32 v7, s11
	s_cmp_lg_u32 s14, 1
	v_add_co_u32_e32 v4, vcc, s10, v4
	s_cselect_b64 s[6:7], -1, 0
	v_addc_co_u32_e32 v5, vcc, v7, v5, vcc
	s_mov_b64 s[8:9], 0
	s_waitcnt vmcnt(0)
	v_subrev_u32_e32 v6, s16, v6
	s_branch .LBB16_4
.LBB16_3:                               ;   in Loop: Header=BB16_4 Depth=1
	s_or_b64 exec, exec, s[14:15]
	v_add_co_u32_e32 v2, vcc, 4, v2
	v_add_u32_e32 v1, 1, v1
	v_addc_co_u32_e32 v3, vcc, 0, v3, vcc
	v_cmp_ge_i32_e32 vcc, v1, v8
	s_or_b64 s[8:9], vcc, s[8:9]
	v_add_co_u32_e32 v4, vcc, 4, v4
	v_addc_co_u32_e32 v5, vcc, 0, v5, vcc
	s_andn2_b64 exec, exec, s[8:9]
	s_cbranch_execz .LBB16_17
.LBB16_4:                               ; =>This Inner Loop Header: Depth=1
	global_load_dword v7, v[2:3], off
	s_and_b64 vcc, exec, s[4:5]
	s_mov_b64 s[14:15], -1
                                        ; implicit-def: $sgpr10_sgpr11
	s_waitcnt vmcnt(0)
	v_subrev_u32_e32 v9, s12, v7
	s_cbranch_vccz .LBB16_10
; %bb.5:                                ;   in Loop: Header=BB16_4 Depth=1
	s_and_b64 vcc, exec, s[6:7]
                                        ; implicit-def: $sgpr10_sgpr11
	s_cbranch_vccz .LBB16_7
; %bb.6:                                ;   in Loop: Header=BB16_4 Depth=1
	v_cmp_le_i32_e64 s[10:11], v0, v9
	s_mov_b64 s[14:15], 0
.LBB16_7:                               ;   in Loop: Header=BB16_4 Depth=1
	s_andn2_b64 vcc, exec, s[14:15]
	s_cbranch_vccnz .LBB16_9
; %bb.8:                                ;   in Loop: Header=BB16_4 Depth=1
	v_cmp_lt_i32_e32 vcc, v0, v9
	s_andn2_b64 s[10:11], s[10:11], exec
	s_and_b64 s[14:15], vcc, exec
	s_or_b64 s[10:11], s[10:11], s[14:15]
.LBB16_9:                               ;   in Loop: Header=BB16_4 Depth=1
	s_mov_b64 s[14:15], 0
.LBB16_10:                              ;   in Loop: Header=BB16_4 Depth=1
	s_andn2_b64 vcc, exec, s[14:15]
	s_cbranch_vccnz .LBB16_15
; %bb.11:                               ;   in Loop: Header=BB16_4 Depth=1
	s_mov_b64 s[14:15], -1
	s_and_b64 vcc, exec, s[6:7]
                                        ; implicit-def: $sgpr10_sgpr11
	s_cbranch_vccz .LBB16_13
; %bb.12:                               ;   in Loop: Header=BB16_4 Depth=1
	v_cmp_ge_i32_e64 s[10:11], v0, v9
	s_mov_b64 s[14:15], 0
.LBB16_13:                              ;   in Loop: Header=BB16_4 Depth=1
	s_andn2_b64 vcc, exec, s[14:15]
	s_cbranch_vccnz .LBB16_15
; %bb.14:                               ;   in Loop: Header=BB16_4 Depth=1
	v_cmp_gt_i32_e32 vcc, v0, v9
	s_andn2_b64 s[10:11], s[10:11], exec
	s_and_b64 s[14:15], vcc, exec
	s_or_b64 s[10:11], s[10:11], s[14:15]
.LBB16_15:                              ;   in Loop: Header=BB16_4 Depth=1
	s_and_saveexec_b64 s[14:15], s[10:11]
	s_cbranch_execz .LBB16_3
; %bb.16:                               ;   in Loop: Header=BB16_4 Depth=1
	global_load_dword v11, v[4:5], off
	v_ashrrev_i32_e32 v7, 31, v6
	v_add_u32_e32 v12, 1, v6
	v_lshlrev_b64 v[6:7], 2, v[6:7]
	v_mov_b32_e32 v10, s1
	v_add_u32_e32 v14, s16, v9
	v_add_co_u32_e32 v9, vcc, s0, v6
	v_addc_co_u32_e32 v10, vcc, v10, v7, vcc
	v_mov_b32_e32 v13, s3
	v_add_co_u32_e32 v6, vcc, s2, v6
	v_addc_co_u32_e32 v7, vcc, v13, v7, vcc
	global_store_dword v[6:7], v14, off
	s_waitcnt vmcnt(1)
	global_store_dword v[9:10], v11, off
	v_mov_b32_e32 v6, v12
	s_branch .LBB16_3
.LBB16_17:
	s_endpgm
	.section	.rodata,"a",@progbits
	.p2align	6, 0x0
	.amdhsa_kernel _ZN9rocsparseL28internal_extract_fill_kernelILj1024EfiiEEvT2_PKT1_PKS1_PKT0_21rocsparse_index_base_b20rocsparse_diag_type_S4_PS1_PS7_SA_
		.amdhsa_group_segment_fixed_size 0
		.amdhsa_private_segment_fixed_size 0
		.amdhsa_kernarg_size 336
		.amdhsa_user_sgpr_count 6
		.amdhsa_user_sgpr_private_segment_buffer 1
		.amdhsa_user_sgpr_dispatch_ptr 0
		.amdhsa_user_sgpr_queue_ptr 0
		.amdhsa_user_sgpr_kernarg_segment_ptr 1
		.amdhsa_user_sgpr_dispatch_id 0
		.amdhsa_user_sgpr_flat_scratch_init 0
		.amdhsa_user_sgpr_private_segment_size 0
		.amdhsa_uses_dynamic_stack 0
		.amdhsa_system_sgpr_private_segment_wavefront_offset 0
		.amdhsa_system_sgpr_workgroup_id_x 1
		.amdhsa_system_sgpr_workgroup_id_y 0
		.amdhsa_system_sgpr_workgroup_id_z 0
		.amdhsa_system_sgpr_workgroup_info 0
		.amdhsa_system_vgpr_workitem_id 0
		.amdhsa_next_free_vgpr 15
		.amdhsa_next_free_sgpr 17
		.amdhsa_reserve_vcc 1
		.amdhsa_reserve_flat_scratch 0
		.amdhsa_float_round_mode_32 0
		.amdhsa_float_round_mode_16_64 0
		.amdhsa_float_denorm_mode_32 3
		.amdhsa_float_denorm_mode_16_64 3
		.amdhsa_dx10_clamp 1
		.amdhsa_ieee_mode 1
		.amdhsa_fp16_overflow 0
		.amdhsa_exception_fp_ieee_invalid_op 0
		.amdhsa_exception_fp_denorm_src 0
		.amdhsa_exception_fp_ieee_div_zero 0
		.amdhsa_exception_fp_ieee_overflow 0
		.amdhsa_exception_fp_ieee_underflow 0
		.amdhsa_exception_fp_ieee_inexact 0
		.amdhsa_exception_int_div_zero 0
	.end_amdhsa_kernel
	.section	.text._ZN9rocsparseL28internal_extract_fill_kernelILj1024EfiiEEvT2_PKT1_PKS1_PKT0_21rocsparse_index_base_b20rocsparse_diag_type_S4_PS1_PS7_SA_,"axG",@progbits,_ZN9rocsparseL28internal_extract_fill_kernelILj1024EfiiEEvT2_PKT1_PKS1_PKT0_21rocsparse_index_base_b20rocsparse_diag_type_S4_PS1_PS7_SA_,comdat
.Lfunc_end16:
	.size	_ZN9rocsparseL28internal_extract_fill_kernelILj1024EfiiEEvT2_PKT1_PKS1_PKT0_21rocsparse_index_base_b20rocsparse_diag_type_S4_PS1_PS7_SA_, .Lfunc_end16-_ZN9rocsparseL28internal_extract_fill_kernelILj1024EfiiEEvT2_PKT1_PKS1_PKT0_21rocsparse_index_base_b20rocsparse_diag_type_S4_PS1_PS7_SA_
                                        ; -- End function
	.set _ZN9rocsparseL28internal_extract_fill_kernelILj1024EfiiEEvT2_PKT1_PKS1_PKT0_21rocsparse_index_base_b20rocsparse_diag_type_S4_PS1_PS7_SA_.num_vgpr, 15
	.set _ZN9rocsparseL28internal_extract_fill_kernelILj1024EfiiEEvT2_PKT1_PKS1_PKT0_21rocsparse_index_base_b20rocsparse_diag_type_S4_PS1_PS7_SA_.num_agpr, 0
	.set _ZN9rocsparseL28internal_extract_fill_kernelILj1024EfiiEEvT2_PKT1_PKS1_PKT0_21rocsparse_index_base_b20rocsparse_diag_type_S4_PS1_PS7_SA_.numbered_sgpr, 17
	.set _ZN9rocsparseL28internal_extract_fill_kernelILj1024EfiiEEvT2_PKT1_PKS1_PKT0_21rocsparse_index_base_b20rocsparse_diag_type_S4_PS1_PS7_SA_.num_named_barrier, 0
	.set _ZN9rocsparseL28internal_extract_fill_kernelILj1024EfiiEEvT2_PKT1_PKS1_PKT0_21rocsparse_index_base_b20rocsparse_diag_type_S4_PS1_PS7_SA_.private_seg_size, 0
	.set _ZN9rocsparseL28internal_extract_fill_kernelILj1024EfiiEEvT2_PKT1_PKS1_PKT0_21rocsparse_index_base_b20rocsparse_diag_type_S4_PS1_PS7_SA_.uses_vcc, 1
	.set _ZN9rocsparseL28internal_extract_fill_kernelILj1024EfiiEEvT2_PKT1_PKS1_PKT0_21rocsparse_index_base_b20rocsparse_diag_type_S4_PS1_PS7_SA_.uses_flat_scratch, 0
	.set _ZN9rocsparseL28internal_extract_fill_kernelILj1024EfiiEEvT2_PKT1_PKS1_PKT0_21rocsparse_index_base_b20rocsparse_diag_type_S4_PS1_PS7_SA_.has_dyn_sized_stack, 0
	.set _ZN9rocsparseL28internal_extract_fill_kernelILj1024EfiiEEvT2_PKT1_PKS1_PKT0_21rocsparse_index_base_b20rocsparse_diag_type_S4_PS1_PS7_SA_.has_recursion, 0
	.set _ZN9rocsparseL28internal_extract_fill_kernelILj1024EfiiEEvT2_PKT1_PKS1_PKT0_21rocsparse_index_base_b20rocsparse_diag_type_S4_PS1_PS7_SA_.has_indirect_call, 0
	.section	.AMDGPU.csdata,"",@progbits
; Kernel info:
; codeLenInByte = 512
; TotalNumSgprs: 21
; NumVgprs: 15
; ScratchSize: 0
; MemoryBound: 0
; FloatMode: 240
; IeeeMode: 1
; LDSByteSize: 0 bytes/workgroup (compile time only)
; SGPRBlocks: 2
; VGPRBlocks: 3
; NumSGPRsForWavesPerEU: 21
; NumVGPRsForWavesPerEU: 15
; Occupancy: 10
; WaveLimiterHint : 0
; COMPUTE_PGM_RSRC2:SCRATCH_EN: 0
; COMPUTE_PGM_RSRC2:USER_SGPR: 6
; COMPUTE_PGM_RSRC2:TRAP_HANDLER: 0
; COMPUTE_PGM_RSRC2:TGID_X_EN: 1
; COMPUTE_PGM_RSRC2:TGID_Y_EN: 0
; COMPUTE_PGM_RSRC2:TGID_Z_EN: 0
; COMPUTE_PGM_RSRC2:TIDIG_COMP_CNT: 0
	.section	.text._ZN9rocsparseL28internal_extract_fill_kernelILj1024EfilEEvT2_PKT1_PKS1_PKT0_21rocsparse_index_base_b20rocsparse_diag_type_S4_PS1_PS7_SA_,"axG",@progbits,_ZN9rocsparseL28internal_extract_fill_kernelILj1024EfilEEvT2_PKT1_PKS1_PKT0_21rocsparse_index_base_b20rocsparse_diag_type_S4_PS1_PS7_SA_,comdat
	.globl	_ZN9rocsparseL28internal_extract_fill_kernelILj1024EfilEEvT2_PKT1_PKS1_PKT0_21rocsparse_index_base_b20rocsparse_diag_type_S4_PS1_PS7_SA_ ; -- Begin function _ZN9rocsparseL28internal_extract_fill_kernelILj1024EfilEEvT2_PKT1_PKS1_PKT0_21rocsparse_index_base_b20rocsparse_diag_type_S4_PS1_PS7_SA_
	.p2align	8
	.type	_ZN9rocsparseL28internal_extract_fill_kernelILj1024EfilEEvT2_PKT1_PKS1_PKT0_21rocsparse_index_base_b20rocsparse_diag_type_S4_PS1_PS7_SA_,@function
_ZN9rocsparseL28internal_extract_fill_kernelILj1024EfilEEvT2_PKT1_PKS1_PKT0_21rocsparse_index_base_b20rocsparse_diag_type_S4_PS1_PS7_SA_: ; @_ZN9rocsparseL28internal_extract_fill_kernelILj1024EfilEEvT2_PKT1_PKS1_PKT0_21rocsparse_index_base_b20rocsparse_diag_type_S4_PS1_PS7_SA_
; %bb.0:
	s_load_dword s2, s[4:5], 0x5c
	s_load_dwordx2 s[0:1], s[4:5], 0x0
	s_waitcnt lgkmcnt(0)
	s_and_b32 s2, s2, 0xffff
	s_mul_i32 s6, s6, s2
	v_add_u32_e32 v0, s6, v0
	v_ashrrev_i32_e32 v1, 31, v0
	v_cmp_gt_i64_e32 vcc, s[0:1], v[0:1]
	s_and_saveexec_b64 s[0:1], vcc
	s_cbranch_execz .LBB17_17
; %bb.1:
	s_load_dwordx2 s[0:1], s[4:5], 0x8
	v_lshlrev_b64 v[4:5], 2, v[0:1]
	s_waitcnt lgkmcnt(0)
	v_mov_b32_e32 v3, s1
	v_add_co_u32_e32 v2, vcc, s0, v4
	v_addc_co_u32_e32 v3, vcc, v3, v5, vcc
	global_load_dwordx2 v[2:3], v[2:3], off
	s_waitcnt vmcnt(0)
	v_cmp_lt_i32_e32 vcc, v2, v3
	s_and_b64 exec, exec, vcc
	s_cbranch_execz .LBB17_17
; %bb.2:
	s_load_dwordx4 s[0:3], s[4:5], 0x30
	s_waitcnt lgkmcnt(0)
	v_mov_b32_e32 v6, s1
	v_add_co_u32_e32 v4, vcc, s0, v4
	v_addc_co_u32_e32 v5, vcc, v6, v5, vcc
	global_load_dword v8, v[4:5], off
	s_load_dwordx8 s[8:15], s[4:5], 0x10
	s_load_dwordx2 s[6:7], s[4:5], 0x40
	s_load_dword s18, s[4:5], 0x48
	s_waitcnt lgkmcnt(0)
	v_subrev_u32_e32 v2, s12, v2
	v_subrev_u32_e32 v11, s12, v3
	v_ashrrev_i32_e32 v3, 31, v2
	v_lshlrev_b64 v[4:5], 3, v[2:3]
	s_bitcmp1_b32 s13, 0
	v_mov_b32_e32 v9, s9
	s_cselect_b64 s[0:1], -1, 0
	v_lshlrev_b64 v[6:7], 2, v[2:3]
	v_add_co_u32_e32 v3, vcc, s8, v4
	s_xor_b64 s[4:5], s[0:1], -1
	v_addc_co_u32_e32 v4, vcc, v9, v5, vcc
	v_mov_b32_e32 v10, s11
	s_cmp_lg_u32 s14, 1
	v_add_co_u32_e32 v5, vcc, s10, v6
	s_cselect_b64 s[14:15], -1, 0
	v_addc_co_u32_e32 v6, vcc, v10, v7, vcc
	s_mov_b64 s[8:9], 0
	s_waitcnt vmcnt(0)
	v_subrev_u32_e32 v7, s18, v8
	s_branch .LBB17_4
.LBB17_3:                               ;   in Loop: Header=BB17_4 Depth=1
	s_or_b64 exec, exec, s[0:1]
	v_add_co_u32_e32 v3, vcc, 8, v3
	v_add_u32_e32 v2, 1, v2
	v_addc_co_u32_e32 v4, vcc, 0, v4, vcc
	v_cmp_ge_i32_e32 vcc, v2, v11
	s_or_b64 s[8:9], vcc, s[8:9]
	v_add_co_u32_e32 v5, vcc, 4, v5
	v_addc_co_u32_e32 v6, vcc, 0, v6, vcc
	s_andn2_b64 exec, exec, s[8:9]
	s_cbranch_execz .LBB17_17
.LBB17_4:                               ; =>This Inner Loop Header: Depth=1
	global_load_dwordx2 v[9:10], v[3:4], off
	s_and_b64 vcc, exec, s[4:5]
	s_mov_b64 s[16:17], -1
                                        ; implicit-def: $sgpr10_sgpr11
	s_waitcnt vmcnt(0)
	v_subrev_co_u32_e64 v9, s[0:1], s12, v9
	v_subbrev_co_u32_e64 v10, s[0:1], 0, v10, s[0:1]
	s_cbranch_vccz .LBB17_10
; %bb.5:                                ;   in Loop: Header=BB17_4 Depth=1
	s_mov_b64 s[0:1], -1
	s_and_b64 vcc, exec, s[14:15]
                                        ; implicit-def: $sgpr10_sgpr11
	s_cbranch_vccz .LBB17_7
; %bb.6:                                ;   in Loop: Header=BB17_4 Depth=1
	v_cmp_ge_i64_e64 s[10:11], v[9:10], v[0:1]
	s_mov_b64 s[0:1], 0
.LBB17_7:                               ;   in Loop: Header=BB17_4 Depth=1
	s_andn2_b64 vcc, exec, s[0:1]
	s_cbranch_vccnz .LBB17_9
; %bb.8:                                ;   in Loop: Header=BB17_4 Depth=1
	v_cmp_gt_i64_e32 vcc, v[9:10], v[0:1]
	s_andn2_b64 s[0:1], s[10:11], exec
	s_and_b64 s[10:11], vcc, exec
	s_or_b64 s[10:11], s[0:1], s[10:11]
.LBB17_9:                               ;   in Loop: Header=BB17_4 Depth=1
	s_mov_b64 s[16:17], 0
.LBB17_10:                              ;   in Loop: Header=BB17_4 Depth=1
	s_andn2_b64 vcc, exec, s[16:17]
	s_cbranch_vccnz .LBB17_15
; %bb.11:                               ;   in Loop: Header=BB17_4 Depth=1
	s_mov_b64 s[0:1], -1
	s_and_b64 vcc, exec, s[14:15]
                                        ; implicit-def: $sgpr10_sgpr11
	s_cbranch_vccz .LBB17_13
; %bb.12:                               ;   in Loop: Header=BB17_4 Depth=1
	v_cmp_le_i64_e64 s[10:11], v[9:10], v[0:1]
	s_mov_b64 s[0:1], 0
.LBB17_13:                              ;   in Loop: Header=BB17_4 Depth=1
	s_andn2_b64 vcc, exec, s[0:1]
	s_cbranch_vccnz .LBB17_15
; %bb.14:                               ;   in Loop: Header=BB17_4 Depth=1
	v_cmp_lt_i64_e32 vcc, v[9:10], v[0:1]
	s_andn2_b64 s[0:1], s[10:11], exec
	s_and_b64 s[10:11], vcc, exec
	s_or_b64 s[10:11], s[0:1], s[10:11]
.LBB17_15:                              ;   in Loop: Header=BB17_4 Depth=1
	s_and_saveexec_b64 s[0:1], s[10:11]
	s_cbranch_execz .LBB17_3
; %bb.16:                               ;   in Loop: Header=BB17_4 Depth=1
	global_load_dword v14, v[5:6], off
	v_ashrrev_i32_e32 v8, 31, v7
	v_add_co_u32_e32 v9, vcc, s18, v9
	v_lshlrev_b64 v[12:13], 2, v[7:8]
	v_addc_co_u32_e32 v10, vcc, 0, v10, vcc
	v_add_u32_e32 v15, 1, v7
	v_mov_b32_e32 v16, s7
	v_lshlrev_b64 v[7:8], 3, v[7:8]
	v_add_co_u32_e32 v12, vcc, s6, v12
	v_addc_co_u32_e32 v13, vcc, v16, v13, vcc
	v_mov_b32_e32 v17, s3
	v_add_co_u32_e32 v7, vcc, s2, v7
	v_addc_co_u32_e32 v8, vcc, v17, v8, vcc
	global_store_dwordx2 v[7:8], v[9:10], off
	s_waitcnt vmcnt(1)
	global_store_dword v[12:13], v14, off
	v_mov_b32_e32 v7, v15
	s_branch .LBB17_3
.LBB17_17:
	s_endpgm
	.section	.rodata,"a",@progbits
	.p2align	6, 0x0
	.amdhsa_kernel _ZN9rocsparseL28internal_extract_fill_kernelILj1024EfilEEvT2_PKT1_PKS1_PKT0_21rocsparse_index_base_b20rocsparse_diag_type_S4_PS1_PS7_SA_
		.amdhsa_group_segment_fixed_size 0
		.amdhsa_private_segment_fixed_size 0
		.amdhsa_kernarg_size 336
		.amdhsa_user_sgpr_count 6
		.amdhsa_user_sgpr_private_segment_buffer 1
		.amdhsa_user_sgpr_dispatch_ptr 0
		.amdhsa_user_sgpr_queue_ptr 0
		.amdhsa_user_sgpr_kernarg_segment_ptr 1
		.amdhsa_user_sgpr_dispatch_id 0
		.amdhsa_user_sgpr_flat_scratch_init 0
		.amdhsa_user_sgpr_private_segment_size 0
		.amdhsa_uses_dynamic_stack 0
		.amdhsa_system_sgpr_private_segment_wavefront_offset 0
		.amdhsa_system_sgpr_workgroup_id_x 1
		.amdhsa_system_sgpr_workgroup_id_y 0
		.amdhsa_system_sgpr_workgroup_id_z 0
		.amdhsa_system_sgpr_workgroup_info 0
		.amdhsa_system_vgpr_workitem_id 0
		.amdhsa_next_free_vgpr 18
		.amdhsa_next_free_sgpr 19
		.amdhsa_reserve_vcc 1
		.amdhsa_reserve_flat_scratch 0
		.amdhsa_float_round_mode_32 0
		.amdhsa_float_round_mode_16_64 0
		.amdhsa_float_denorm_mode_32 3
		.amdhsa_float_denorm_mode_16_64 3
		.amdhsa_dx10_clamp 1
		.amdhsa_ieee_mode 1
		.amdhsa_fp16_overflow 0
		.amdhsa_exception_fp_ieee_invalid_op 0
		.amdhsa_exception_fp_denorm_src 0
		.amdhsa_exception_fp_ieee_div_zero 0
		.amdhsa_exception_fp_ieee_overflow 0
		.amdhsa_exception_fp_ieee_underflow 0
		.amdhsa_exception_fp_ieee_inexact 0
		.amdhsa_exception_int_div_zero 0
	.end_amdhsa_kernel
	.section	.text._ZN9rocsparseL28internal_extract_fill_kernelILj1024EfilEEvT2_PKT1_PKS1_PKT0_21rocsparse_index_base_b20rocsparse_diag_type_S4_PS1_PS7_SA_,"axG",@progbits,_ZN9rocsparseL28internal_extract_fill_kernelILj1024EfilEEvT2_PKT1_PKS1_PKT0_21rocsparse_index_base_b20rocsparse_diag_type_S4_PS1_PS7_SA_,comdat
.Lfunc_end17:
	.size	_ZN9rocsparseL28internal_extract_fill_kernelILj1024EfilEEvT2_PKT1_PKS1_PKT0_21rocsparse_index_base_b20rocsparse_diag_type_S4_PS1_PS7_SA_, .Lfunc_end17-_ZN9rocsparseL28internal_extract_fill_kernelILj1024EfilEEvT2_PKT1_PKS1_PKT0_21rocsparse_index_base_b20rocsparse_diag_type_S4_PS1_PS7_SA_
                                        ; -- End function
	.set _ZN9rocsparseL28internal_extract_fill_kernelILj1024EfilEEvT2_PKT1_PKS1_PKT0_21rocsparse_index_base_b20rocsparse_diag_type_S4_PS1_PS7_SA_.num_vgpr, 18
	.set _ZN9rocsparseL28internal_extract_fill_kernelILj1024EfilEEvT2_PKT1_PKS1_PKT0_21rocsparse_index_base_b20rocsparse_diag_type_S4_PS1_PS7_SA_.num_agpr, 0
	.set _ZN9rocsparseL28internal_extract_fill_kernelILj1024EfilEEvT2_PKT1_PKS1_PKT0_21rocsparse_index_base_b20rocsparse_diag_type_S4_PS1_PS7_SA_.numbered_sgpr, 19
	.set _ZN9rocsparseL28internal_extract_fill_kernelILj1024EfilEEvT2_PKT1_PKS1_PKT0_21rocsparse_index_base_b20rocsparse_diag_type_S4_PS1_PS7_SA_.num_named_barrier, 0
	.set _ZN9rocsparseL28internal_extract_fill_kernelILj1024EfilEEvT2_PKT1_PKS1_PKT0_21rocsparse_index_base_b20rocsparse_diag_type_S4_PS1_PS7_SA_.private_seg_size, 0
	.set _ZN9rocsparseL28internal_extract_fill_kernelILj1024EfilEEvT2_PKT1_PKS1_PKT0_21rocsparse_index_base_b20rocsparse_diag_type_S4_PS1_PS7_SA_.uses_vcc, 1
	.set _ZN9rocsparseL28internal_extract_fill_kernelILj1024EfilEEvT2_PKT1_PKS1_PKT0_21rocsparse_index_base_b20rocsparse_diag_type_S4_PS1_PS7_SA_.uses_flat_scratch, 0
	.set _ZN9rocsparseL28internal_extract_fill_kernelILj1024EfilEEvT2_PKT1_PKS1_PKT0_21rocsparse_index_base_b20rocsparse_diag_type_S4_PS1_PS7_SA_.has_dyn_sized_stack, 0
	.set _ZN9rocsparseL28internal_extract_fill_kernelILj1024EfilEEvT2_PKT1_PKS1_PKT0_21rocsparse_index_base_b20rocsparse_diag_type_S4_PS1_PS7_SA_.has_recursion, 0
	.set _ZN9rocsparseL28internal_extract_fill_kernelILj1024EfilEEvT2_PKT1_PKS1_PKT0_21rocsparse_index_base_b20rocsparse_diag_type_S4_PS1_PS7_SA_.has_indirect_call, 0
	.section	.AMDGPU.csdata,"",@progbits
; Kernel info:
; codeLenInByte = 548
; TotalNumSgprs: 23
; NumVgprs: 18
; ScratchSize: 0
; MemoryBound: 0
; FloatMode: 240
; IeeeMode: 1
; LDSByteSize: 0 bytes/workgroup (compile time only)
; SGPRBlocks: 2
; VGPRBlocks: 4
; NumSGPRsForWavesPerEU: 23
; NumVGPRsForWavesPerEU: 18
; Occupancy: 10
; WaveLimiterHint : 0
; COMPUTE_PGM_RSRC2:SCRATCH_EN: 0
; COMPUTE_PGM_RSRC2:USER_SGPR: 6
; COMPUTE_PGM_RSRC2:TRAP_HANDLER: 0
; COMPUTE_PGM_RSRC2:TGID_X_EN: 1
; COMPUTE_PGM_RSRC2:TGID_Y_EN: 0
; COMPUTE_PGM_RSRC2:TGID_Z_EN: 0
; COMPUTE_PGM_RSRC2:TIDIG_COMP_CNT: 0
	.section	.text._ZN9rocsparseL28internal_extract_fill_kernelILj1024EfliEEvT2_PKT1_PKS1_PKT0_21rocsparse_index_base_b20rocsparse_diag_type_S4_PS1_PS7_SA_,"axG",@progbits,_ZN9rocsparseL28internal_extract_fill_kernelILj1024EfliEEvT2_PKT1_PKS1_PKT0_21rocsparse_index_base_b20rocsparse_diag_type_S4_PS1_PS7_SA_,comdat
	.globl	_ZN9rocsparseL28internal_extract_fill_kernelILj1024EfliEEvT2_PKT1_PKS1_PKT0_21rocsparse_index_base_b20rocsparse_diag_type_S4_PS1_PS7_SA_ ; -- Begin function _ZN9rocsparseL28internal_extract_fill_kernelILj1024EfliEEvT2_PKT1_PKS1_PKT0_21rocsparse_index_base_b20rocsparse_diag_type_S4_PS1_PS7_SA_
	.p2align	8
	.type	_ZN9rocsparseL28internal_extract_fill_kernelILj1024EfliEEvT2_PKT1_PKS1_PKT0_21rocsparse_index_base_b20rocsparse_diag_type_S4_PS1_PS7_SA_,@function
_ZN9rocsparseL28internal_extract_fill_kernelILj1024EfliEEvT2_PKT1_PKS1_PKT0_21rocsparse_index_base_b20rocsparse_diag_type_S4_PS1_PS7_SA_: ; @_ZN9rocsparseL28internal_extract_fill_kernelILj1024EfliEEvT2_PKT1_PKS1_PKT0_21rocsparse_index_base_b20rocsparse_diag_type_S4_PS1_PS7_SA_
; %bb.0:
	s_load_dword s0, s[4:5], 0x0
	s_load_dword s2, s[4:5], 0x5c
	v_mov_b32_e32 v5, 0
	s_waitcnt lgkmcnt(0)
	s_ashr_i32 s1, s0, 31
	s_and_b32 s2, s2, 0xffff
	s_mul_i32 s6, s6, s2
	v_add_u32_e32 v4, s6, v0
	v_cmp_gt_i64_e32 vcc, s[0:1], v[4:5]
	s_and_saveexec_b64 s[0:1], vcc
	s_cbranch_execz .LBB18_17
; %bb.1:
	s_load_dwordx2 s[0:1], s[4:5], 0x8
	v_lshlrev_b64 v[5:6], 3, v[4:5]
	s_waitcnt lgkmcnt(0)
	v_mov_b32_e32 v1, s1
	v_add_co_u32_e32 v0, vcc, s0, v5
	v_addc_co_u32_e32 v1, vcc, v1, v6, vcc
	global_load_dwordx4 v[0:3], v[0:1], off
	s_waitcnt vmcnt(0)
	v_cmp_lt_i64_e32 vcc, v[0:1], v[2:3]
	s_and_b64 exec, exec, vcc
	s_cbranch_execz .LBB18_17
; %bb.2:
	s_load_dwordx4 s[0:3], s[4:5], 0x30
	s_waitcnt lgkmcnt(0)
	v_mov_b32_e32 v7, s1
	v_add_co_u32_e32 v5, vcc, s0, v5
	v_addc_co_u32_e32 v6, vcc, v7, v6, vcc
	global_load_dwordx2 v[9:10], v[5:6], off
	s_load_dwordx8 s[8:15], s[4:5], 0x10
	s_load_dwordx2 s[6:7], s[4:5], 0x40
	s_load_dword s16, s[4:5], 0x48
	s_mov_b32 s1, 0
	v_lshlrev_b64 v[5:6], 2, v[0:1]
	s_waitcnt lgkmcnt(0)
	s_bitcmp1_b32 s13, 0
	v_subrev_co_u32_e32 v2, vcc, s12, v2
	s_cselect_b64 s[4:5], -1, 0
	v_subbrev_co_u32_e32 v3, vcc, 0, v3, vcc
	s_xor_b64 s[4:5], s[4:5], -1
	s_mov_b32 s0, s12
	v_subrev_co_u32_e32 v0, vcc, s12, v0
	s_cmp_lg_u32 s14, 1
	v_subbrev_co_u32_e32 v1, vcc, 0, v1, vcc
	s_cselect_b64 s[14:15], -1, 0
	s_lshl_b64 s[0:1], s[0:1], 2
	v_mov_b32_e32 v11, s1
	v_subrev_co_u32_e32 v12, vcc, s0, v5
	v_subb_co_u32_e32 v11, vcc, v6, v11, vcc
	v_mov_b32_e32 v7, s11
	v_add_co_u32_e32 v5, vcc, s10, v12
	v_addc_co_u32_e32 v6, vcc, v7, v11, vcc
	v_mov_b32_e32 v8, s9
	v_add_co_u32_e32 v7, vcc, s8, v12
	v_addc_co_u32_e32 v8, vcc, v8, v11, vcc
	s_mov_b64 s[8:9], 0
	s_waitcnt vmcnt(0)
	v_subrev_co_u32_e32 v9, vcc, s16, v9
	v_subbrev_co_u32_e32 v10, vcc, 0, v10, vcc
	s_branch .LBB18_4
.LBB18_3:                               ;   in Loop: Header=BB18_4 Depth=1
	s_or_b64 exec, exec, s[10:11]
	v_add_co_u32_e32 v0, vcc, 1, v0
	v_addc_co_u32_e32 v1, vcc, 0, v1, vcc
	v_cmp_ge_i64_e32 vcc, v[0:1], v[2:3]
	v_add_co_u32_e64 v5, s[0:1], 4, v5
	s_or_b64 s[8:9], vcc, s[8:9]
	v_add_co_u32_e32 v7, vcc, 4, v7
	v_addc_co_u32_e64 v6, s[0:1], 0, v6, s[0:1]
	v_addc_co_u32_e32 v8, vcc, 0, v8, vcc
	s_andn2_b64 exec, exec, s[8:9]
	s_cbranch_execz .LBB18_17
.LBB18_4:                               ; =>This Inner Loop Header: Depth=1
	global_load_dword v11, v[7:8], off
	s_and_b64 vcc, exec, s[4:5]
	s_mov_b64 s[10:11], -1
                                        ; implicit-def: $sgpr0_sgpr1
	s_waitcnt vmcnt(0)
	v_subrev_u32_e32 v11, s12, v11
	s_cbranch_vccz .LBB18_10
; %bb.5:                                ;   in Loop: Header=BB18_4 Depth=1
	s_and_b64 vcc, exec, s[14:15]
                                        ; implicit-def: $sgpr0_sgpr1
	s_cbranch_vccz .LBB18_7
; %bb.6:                                ;   in Loop: Header=BB18_4 Depth=1
	v_cmp_le_i32_e64 s[0:1], v4, v11
	s_mov_b64 s[10:11], 0
.LBB18_7:                               ;   in Loop: Header=BB18_4 Depth=1
	s_andn2_b64 vcc, exec, s[10:11]
	s_cbranch_vccnz .LBB18_9
; %bb.8:                                ;   in Loop: Header=BB18_4 Depth=1
	v_cmp_lt_i32_e32 vcc, v4, v11
	s_andn2_b64 s[0:1], s[0:1], exec
	s_and_b64 s[10:11], vcc, exec
	s_or_b64 s[0:1], s[0:1], s[10:11]
.LBB18_9:                               ;   in Loop: Header=BB18_4 Depth=1
	s_mov_b64 s[10:11], 0
.LBB18_10:                              ;   in Loop: Header=BB18_4 Depth=1
	s_andn2_b64 vcc, exec, s[10:11]
	s_cbranch_vccnz .LBB18_15
; %bb.11:                               ;   in Loop: Header=BB18_4 Depth=1
	s_mov_b64 s[10:11], -1
	s_and_b64 vcc, exec, s[14:15]
                                        ; implicit-def: $sgpr0_sgpr1
	s_cbranch_vccz .LBB18_13
; %bb.12:                               ;   in Loop: Header=BB18_4 Depth=1
	v_cmp_ge_i32_e64 s[0:1], v4, v11
	s_mov_b64 s[10:11], 0
.LBB18_13:                              ;   in Loop: Header=BB18_4 Depth=1
	s_andn2_b64 vcc, exec, s[10:11]
	s_cbranch_vccnz .LBB18_15
; %bb.14:                               ;   in Loop: Header=BB18_4 Depth=1
	v_cmp_gt_i32_e32 vcc, v4, v11
	s_andn2_b64 s[0:1], s[0:1], exec
	s_and_b64 s[10:11], vcc, exec
	s_or_b64 s[0:1], s[0:1], s[10:11]
.LBB18_15:                              ;   in Loop: Header=BB18_4 Depth=1
	s_and_saveexec_b64 s[10:11], s[0:1]
	s_cbranch_execz .LBB18_3
; %bb.16:                               ;   in Loop: Header=BB18_4 Depth=1
	global_load_dword v16, v[5:6], off
	v_add_co_u32_e32 v12, vcc, 1, v9
	v_addc_co_u32_e32 v13, vcc, 0, v10, vcc
	v_lshlrev_b64 v[9:10], 2, v[9:10]
	v_mov_b32_e32 v15, s7
	v_add_co_u32_e32 v14, vcc, s6, v9
	v_addc_co_u32_e32 v15, vcc, v15, v10, vcc
	v_mov_b32_e32 v17, s3
	v_add_co_u32_e32 v9, vcc, s2, v9
	v_add_u32_e32 v11, s16, v11
	v_addc_co_u32_e32 v10, vcc, v17, v10, vcc
	global_store_dword v[9:10], v11, off
	s_waitcnt vmcnt(1)
	global_store_dword v[14:15], v16, off
	v_mov_b32_e32 v9, v12
	v_mov_b32_e32 v10, v13
	s_branch .LBB18_3
.LBB18_17:
	s_endpgm
	.section	.rodata,"a",@progbits
	.p2align	6, 0x0
	.amdhsa_kernel _ZN9rocsparseL28internal_extract_fill_kernelILj1024EfliEEvT2_PKT1_PKS1_PKT0_21rocsparse_index_base_b20rocsparse_diag_type_S4_PS1_PS7_SA_
		.amdhsa_group_segment_fixed_size 0
		.amdhsa_private_segment_fixed_size 0
		.amdhsa_kernarg_size 336
		.amdhsa_user_sgpr_count 6
		.amdhsa_user_sgpr_private_segment_buffer 1
		.amdhsa_user_sgpr_dispatch_ptr 0
		.amdhsa_user_sgpr_queue_ptr 0
		.amdhsa_user_sgpr_kernarg_segment_ptr 1
		.amdhsa_user_sgpr_dispatch_id 0
		.amdhsa_user_sgpr_flat_scratch_init 0
		.amdhsa_user_sgpr_private_segment_size 0
		.amdhsa_uses_dynamic_stack 0
		.amdhsa_system_sgpr_private_segment_wavefront_offset 0
		.amdhsa_system_sgpr_workgroup_id_x 1
		.amdhsa_system_sgpr_workgroup_id_y 0
		.amdhsa_system_sgpr_workgroup_id_z 0
		.amdhsa_system_sgpr_workgroup_info 0
		.amdhsa_system_vgpr_workitem_id 0
		.amdhsa_next_free_vgpr 18
		.amdhsa_next_free_sgpr 17
		.amdhsa_reserve_vcc 1
		.amdhsa_reserve_flat_scratch 0
		.amdhsa_float_round_mode_32 0
		.amdhsa_float_round_mode_16_64 0
		.amdhsa_float_denorm_mode_32 3
		.amdhsa_float_denorm_mode_16_64 3
		.amdhsa_dx10_clamp 1
		.amdhsa_ieee_mode 1
		.amdhsa_fp16_overflow 0
		.amdhsa_exception_fp_ieee_invalid_op 0
		.amdhsa_exception_fp_denorm_src 0
		.amdhsa_exception_fp_ieee_div_zero 0
		.amdhsa_exception_fp_ieee_overflow 0
		.amdhsa_exception_fp_ieee_underflow 0
		.amdhsa_exception_fp_ieee_inexact 0
		.amdhsa_exception_int_div_zero 0
	.end_amdhsa_kernel
	.section	.text._ZN9rocsparseL28internal_extract_fill_kernelILj1024EfliEEvT2_PKT1_PKS1_PKT0_21rocsparse_index_base_b20rocsparse_diag_type_S4_PS1_PS7_SA_,"axG",@progbits,_ZN9rocsparseL28internal_extract_fill_kernelILj1024EfliEEvT2_PKT1_PKS1_PKT0_21rocsparse_index_base_b20rocsparse_diag_type_S4_PS1_PS7_SA_,comdat
.Lfunc_end18:
	.size	_ZN9rocsparseL28internal_extract_fill_kernelILj1024EfliEEvT2_PKT1_PKS1_PKT0_21rocsparse_index_base_b20rocsparse_diag_type_S4_PS1_PS7_SA_, .Lfunc_end18-_ZN9rocsparseL28internal_extract_fill_kernelILj1024EfliEEvT2_PKT1_PKS1_PKT0_21rocsparse_index_base_b20rocsparse_diag_type_S4_PS1_PS7_SA_
                                        ; -- End function
	.set _ZN9rocsparseL28internal_extract_fill_kernelILj1024EfliEEvT2_PKT1_PKS1_PKT0_21rocsparse_index_base_b20rocsparse_diag_type_S4_PS1_PS7_SA_.num_vgpr, 18
	.set _ZN9rocsparseL28internal_extract_fill_kernelILj1024EfliEEvT2_PKT1_PKS1_PKT0_21rocsparse_index_base_b20rocsparse_diag_type_S4_PS1_PS7_SA_.num_agpr, 0
	.set _ZN9rocsparseL28internal_extract_fill_kernelILj1024EfliEEvT2_PKT1_PKS1_PKT0_21rocsparse_index_base_b20rocsparse_diag_type_S4_PS1_PS7_SA_.numbered_sgpr, 17
	.set _ZN9rocsparseL28internal_extract_fill_kernelILj1024EfliEEvT2_PKT1_PKS1_PKT0_21rocsparse_index_base_b20rocsparse_diag_type_S4_PS1_PS7_SA_.num_named_barrier, 0
	.set _ZN9rocsparseL28internal_extract_fill_kernelILj1024EfliEEvT2_PKT1_PKS1_PKT0_21rocsparse_index_base_b20rocsparse_diag_type_S4_PS1_PS7_SA_.private_seg_size, 0
	.set _ZN9rocsparseL28internal_extract_fill_kernelILj1024EfliEEvT2_PKT1_PKS1_PKT0_21rocsparse_index_base_b20rocsparse_diag_type_S4_PS1_PS7_SA_.uses_vcc, 1
	.set _ZN9rocsparseL28internal_extract_fill_kernelILj1024EfliEEvT2_PKT1_PKS1_PKT0_21rocsparse_index_base_b20rocsparse_diag_type_S4_PS1_PS7_SA_.uses_flat_scratch, 0
	.set _ZN9rocsparseL28internal_extract_fill_kernelILj1024EfliEEvT2_PKT1_PKS1_PKT0_21rocsparse_index_base_b20rocsparse_diag_type_S4_PS1_PS7_SA_.has_dyn_sized_stack, 0
	.set _ZN9rocsparseL28internal_extract_fill_kernelILj1024EfliEEvT2_PKT1_PKS1_PKT0_21rocsparse_index_base_b20rocsparse_diag_type_S4_PS1_PS7_SA_.has_recursion, 0
	.set _ZN9rocsparseL28internal_extract_fill_kernelILj1024EfliEEvT2_PKT1_PKS1_PKT0_21rocsparse_index_base_b20rocsparse_diag_type_S4_PS1_PS7_SA_.has_indirect_call, 0
	.section	.AMDGPU.csdata,"",@progbits
; Kernel info:
; codeLenInByte = 564
; TotalNumSgprs: 21
; NumVgprs: 18
; ScratchSize: 0
; MemoryBound: 0
; FloatMode: 240
; IeeeMode: 1
; LDSByteSize: 0 bytes/workgroup (compile time only)
; SGPRBlocks: 2
; VGPRBlocks: 4
; NumSGPRsForWavesPerEU: 21
; NumVGPRsForWavesPerEU: 18
; Occupancy: 10
; WaveLimiterHint : 0
; COMPUTE_PGM_RSRC2:SCRATCH_EN: 0
; COMPUTE_PGM_RSRC2:USER_SGPR: 6
; COMPUTE_PGM_RSRC2:TRAP_HANDLER: 0
; COMPUTE_PGM_RSRC2:TGID_X_EN: 1
; COMPUTE_PGM_RSRC2:TGID_Y_EN: 0
; COMPUTE_PGM_RSRC2:TGID_Z_EN: 0
; COMPUTE_PGM_RSRC2:TIDIG_COMP_CNT: 0
	.section	.text._ZN9rocsparseL28internal_extract_fill_kernelILj1024EfllEEvT2_PKT1_PKS1_PKT0_21rocsparse_index_base_b20rocsparse_diag_type_S4_PS1_PS7_SA_,"axG",@progbits,_ZN9rocsparseL28internal_extract_fill_kernelILj1024EfllEEvT2_PKT1_PKS1_PKT0_21rocsparse_index_base_b20rocsparse_diag_type_S4_PS1_PS7_SA_,comdat
	.globl	_ZN9rocsparseL28internal_extract_fill_kernelILj1024EfllEEvT2_PKT1_PKS1_PKT0_21rocsparse_index_base_b20rocsparse_diag_type_S4_PS1_PS7_SA_ ; -- Begin function _ZN9rocsparseL28internal_extract_fill_kernelILj1024EfllEEvT2_PKT1_PKS1_PKT0_21rocsparse_index_base_b20rocsparse_diag_type_S4_PS1_PS7_SA_
	.p2align	8
	.type	_ZN9rocsparseL28internal_extract_fill_kernelILj1024EfllEEvT2_PKT1_PKS1_PKT0_21rocsparse_index_base_b20rocsparse_diag_type_S4_PS1_PS7_SA_,@function
_ZN9rocsparseL28internal_extract_fill_kernelILj1024EfllEEvT2_PKT1_PKS1_PKT0_21rocsparse_index_base_b20rocsparse_diag_type_S4_PS1_PS7_SA_: ; @_ZN9rocsparseL28internal_extract_fill_kernelILj1024EfllEEvT2_PKT1_PKS1_PKT0_21rocsparse_index_base_b20rocsparse_diag_type_S4_PS1_PS7_SA_
; %bb.0:
	s_load_dword s2, s[4:5], 0x5c
	s_load_dwordx2 s[0:1], s[4:5], 0x0
	v_mov_b32_e32 v5, 0
	s_waitcnt lgkmcnt(0)
	s_and_b32 s2, s2, 0xffff
	s_mul_i32 s6, s6, s2
	v_add_u32_e32 v4, s6, v0
	v_cmp_gt_i64_e32 vcc, s[0:1], v[4:5]
	s_and_saveexec_b64 s[0:1], vcc
	s_cbranch_execz .LBB19_17
; %bb.1:
	s_load_dwordx2 s[0:1], s[4:5], 0x8
	v_lshlrev_b64 v[6:7], 3, v[4:5]
	s_waitcnt lgkmcnt(0)
	v_mov_b32_e32 v1, s1
	v_add_co_u32_e32 v0, vcc, s0, v6
	v_addc_co_u32_e32 v1, vcc, v1, v7, vcc
	global_load_dwordx4 v[0:3], v[0:1], off
	s_waitcnt vmcnt(0)
	v_cmp_lt_i64_e32 vcc, v[0:1], v[2:3]
	s_and_b64 exec, exec, vcc
	s_cbranch_execz .LBB19_17
; %bb.2:
	s_load_dwordx4 s[0:3], s[4:5], 0x30
	s_waitcnt lgkmcnt(0)
	v_mov_b32_e32 v8, s1
	v_add_co_u32_e32 v6, vcc, s0, v6
	v_addc_co_u32_e32 v7, vcc, v8, v7, vcc
	global_load_dwordx2 v[10:11], v[6:7], off
	s_load_dwordx2 s[6:7], s[4:5], 0x40
	s_load_dwordx8 s[8:15], s[4:5], 0x10
	s_load_dword s18, s[4:5], 0x48
	v_lshlrev_b64 v[6:7], 2, v[0:1]
	v_lshlrev_b64 v[8:9], 3, v[0:1]
	s_mov_b32 s5, 0
	s_waitcnt lgkmcnt(0)
	v_subrev_co_u32_e32 v2, vcc, s12, v2
	s_bitcmp1_b32 s13, 0
	v_subbrev_co_u32_e32 v3, vcc, 0, v3, vcc
	s_cselect_b64 s[0:1], -1, 0
	s_mov_b32 s4, s12
	v_subrev_co_u32_e32 v0, vcc, s12, v0
	s_xor_b64 s[12:13], s[0:1], -1
	s_cmp_lg_u32 s14, 1
	v_subbrev_co_u32_e32 v1, vcc, 0, v1, vcc
	s_cselect_b64 s[14:15], -1, 0
	s_lshl_b64 s[0:1], s[4:5], 2
	v_mov_b32_e32 v14, s1
	v_subrev_co_u32_e32 v6, vcc, s0, v6
	s_lshl_b64 s[16:17], s[4:5], 3
	v_subb_co_u32_e32 v7, vcc, v7, v14, vcc
	v_mov_b32_e32 v15, s17
	v_subrev_co_u32_e32 v8, vcc, s16, v8
	v_subb_co_u32_e32 v9, vcc, v9, v15, vcc
	v_mov_b32_e32 v12, s11
	v_add_co_u32_e32 v6, vcc, s10, v6
	v_addc_co_u32_e32 v7, vcc, v12, v7, vcc
	v_mov_b32_e32 v13, s9
	v_add_co_u32_e32 v8, vcc, s8, v8
	v_addc_co_u32_e32 v9, vcc, v13, v9, vcc
	s_mov_b64 s[8:9], 0
	s_waitcnt vmcnt(0)
	v_subrev_co_u32_e32 v10, vcc, s18, v10
	v_subbrev_co_u32_e32 v11, vcc, 0, v11, vcc
	s_branch .LBB19_4
.LBB19_3:                               ;   in Loop: Header=BB19_4 Depth=1
	s_or_b64 exec, exec, s[0:1]
	v_add_co_u32_e32 v0, vcc, 1, v0
	v_addc_co_u32_e32 v1, vcc, 0, v1, vcc
	v_cmp_ge_i64_e32 vcc, v[0:1], v[2:3]
	v_add_co_u32_e64 v6, s[0:1], 4, v6
	s_or_b64 s[8:9], vcc, s[8:9]
	v_add_co_u32_e32 v8, vcc, 8, v8
	v_addc_co_u32_e64 v7, s[0:1], 0, v7, s[0:1]
	v_addc_co_u32_e32 v9, vcc, 0, v9, vcc
	s_andn2_b64 exec, exec, s[8:9]
	s_cbranch_execz .LBB19_17
.LBB19_4:                               ; =>This Inner Loop Header: Depth=1
	global_load_dwordx2 v[12:13], v[8:9], off
	s_and_b64 vcc, exec, s[12:13]
	s_mov_b64 s[16:17], -1
                                        ; implicit-def: $sgpr10_sgpr11
	s_waitcnt vmcnt(0)
	v_subrev_co_u32_e64 v12, s[0:1], s4, v12
	v_subbrev_co_u32_e64 v13, s[0:1], 0, v13, s[0:1]
	s_cbranch_vccz .LBB19_10
; %bb.5:                                ;   in Loop: Header=BB19_4 Depth=1
	s_mov_b64 s[0:1], -1
	s_and_b64 vcc, exec, s[14:15]
                                        ; implicit-def: $sgpr10_sgpr11
	s_cbranch_vccz .LBB19_7
; %bb.6:                                ;   in Loop: Header=BB19_4 Depth=1
	v_cmp_ge_i64_e64 s[10:11], v[12:13], v[4:5]
	s_mov_b64 s[0:1], 0
.LBB19_7:                               ;   in Loop: Header=BB19_4 Depth=1
	s_andn2_b64 vcc, exec, s[0:1]
	s_cbranch_vccnz .LBB19_9
; %bb.8:                                ;   in Loop: Header=BB19_4 Depth=1
	v_cmp_gt_i64_e32 vcc, v[12:13], v[4:5]
	s_andn2_b64 s[0:1], s[10:11], exec
	s_and_b64 s[10:11], vcc, exec
	s_or_b64 s[10:11], s[0:1], s[10:11]
.LBB19_9:                               ;   in Loop: Header=BB19_4 Depth=1
	s_mov_b64 s[16:17], 0
.LBB19_10:                              ;   in Loop: Header=BB19_4 Depth=1
	s_andn2_b64 vcc, exec, s[16:17]
	s_cbranch_vccnz .LBB19_15
; %bb.11:                               ;   in Loop: Header=BB19_4 Depth=1
	s_mov_b64 s[0:1], -1
	s_and_b64 vcc, exec, s[14:15]
                                        ; implicit-def: $sgpr10_sgpr11
	s_cbranch_vccz .LBB19_13
; %bb.12:                               ;   in Loop: Header=BB19_4 Depth=1
	v_cmp_le_i64_e64 s[10:11], v[12:13], v[4:5]
	s_mov_b64 s[0:1], 0
.LBB19_13:                              ;   in Loop: Header=BB19_4 Depth=1
	s_andn2_b64 vcc, exec, s[0:1]
	s_cbranch_vccnz .LBB19_15
; %bb.14:                               ;   in Loop: Header=BB19_4 Depth=1
	v_cmp_lt_i64_e32 vcc, v[12:13], v[4:5]
	s_andn2_b64 s[0:1], s[10:11], exec
	s_and_b64 s[10:11], vcc, exec
	s_or_b64 s[10:11], s[0:1], s[10:11]
.LBB19_15:                              ;   in Loop: Header=BB19_4 Depth=1
	s_and_saveexec_b64 s[0:1], s[10:11]
	s_cbranch_execz .LBB19_3
; %bb.16:                               ;   in Loop: Header=BB19_4 Depth=1
	global_load_dword v18, v[6:7], off
	v_add_co_u32_e32 v14, vcc, 1, v10
	v_addc_co_u32_e32 v15, vcc, 0, v11, vcc
	v_lshlrev_b64 v[16:17], 2, v[10:11]
	v_add_co_u32_e32 v12, vcc, s18, v12
	v_addc_co_u32_e32 v13, vcc, 0, v13, vcc
	v_mov_b32_e32 v19, s7
	v_lshlrev_b64 v[10:11], 3, v[10:11]
	v_add_co_u32_e32 v16, vcc, s6, v16
	v_addc_co_u32_e32 v17, vcc, v19, v17, vcc
	v_mov_b32_e32 v20, s3
	v_add_co_u32_e32 v10, vcc, s2, v10
	v_addc_co_u32_e32 v11, vcc, v20, v11, vcc
	global_store_dwordx2 v[10:11], v[12:13], off
	s_waitcnt vmcnt(1)
	global_store_dword v[16:17], v18, off
	v_mov_b32_e32 v10, v14
	v_mov_b32_e32 v11, v15
	s_branch .LBB19_3
.LBB19_17:
	s_endpgm
	.section	.rodata,"a",@progbits
	.p2align	6, 0x0
	.amdhsa_kernel _ZN9rocsparseL28internal_extract_fill_kernelILj1024EfllEEvT2_PKT1_PKS1_PKT0_21rocsparse_index_base_b20rocsparse_diag_type_S4_PS1_PS7_SA_
		.amdhsa_group_segment_fixed_size 0
		.amdhsa_private_segment_fixed_size 0
		.amdhsa_kernarg_size 336
		.amdhsa_user_sgpr_count 6
		.amdhsa_user_sgpr_private_segment_buffer 1
		.amdhsa_user_sgpr_dispatch_ptr 0
		.amdhsa_user_sgpr_queue_ptr 0
		.amdhsa_user_sgpr_kernarg_segment_ptr 1
		.amdhsa_user_sgpr_dispatch_id 0
		.amdhsa_user_sgpr_flat_scratch_init 0
		.amdhsa_user_sgpr_private_segment_size 0
		.amdhsa_uses_dynamic_stack 0
		.amdhsa_system_sgpr_private_segment_wavefront_offset 0
		.amdhsa_system_sgpr_workgroup_id_x 1
		.amdhsa_system_sgpr_workgroup_id_y 0
		.amdhsa_system_sgpr_workgroup_id_z 0
		.amdhsa_system_sgpr_workgroup_info 0
		.amdhsa_system_vgpr_workitem_id 0
		.amdhsa_next_free_vgpr 21
		.amdhsa_next_free_sgpr 19
		.amdhsa_reserve_vcc 1
		.amdhsa_reserve_flat_scratch 0
		.amdhsa_float_round_mode_32 0
		.amdhsa_float_round_mode_16_64 0
		.amdhsa_float_denorm_mode_32 3
		.amdhsa_float_denorm_mode_16_64 3
		.amdhsa_dx10_clamp 1
		.amdhsa_ieee_mode 1
		.amdhsa_fp16_overflow 0
		.amdhsa_exception_fp_ieee_invalid_op 0
		.amdhsa_exception_fp_denorm_src 0
		.amdhsa_exception_fp_ieee_div_zero 0
		.amdhsa_exception_fp_ieee_overflow 0
		.amdhsa_exception_fp_ieee_underflow 0
		.amdhsa_exception_fp_ieee_inexact 0
		.amdhsa_exception_int_div_zero 0
	.end_amdhsa_kernel
	.section	.text._ZN9rocsparseL28internal_extract_fill_kernelILj1024EfllEEvT2_PKT1_PKS1_PKT0_21rocsparse_index_base_b20rocsparse_diag_type_S4_PS1_PS7_SA_,"axG",@progbits,_ZN9rocsparseL28internal_extract_fill_kernelILj1024EfllEEvT2_PKT1_PKS1_PKT0_21rocsparse_index_base_b20rocsparse_diag_type_S4_PS1_PS7_SA_,comdat
.Lfunc_end19:
	.size	_ZN9rocsparseL28internal_extract_fill_kernelILj1024EfllEEvT2_PKT1_PKS1_PKT0_21rocsparse_index_base_b20rocsparse_diag_type_S4_PS1_PS7_SA_, .Lfunc_end19-_ZN9rocsparseL28internal_extract_fill_kernelILj1024EfllEEvT2_PKT1_PKS1_PKT0_21rocsparse_index_base_b20rocsparse_diag_type_S4_PS1_PS7_SA_
                                        ; -- End function
	.set _ZN9rocsparseL28internal_extract_fill_kernelILj1024EfllEEvT2_PKT1_PKS1_PKT0_21rocsparse_index_base_b20rocsparse_diag_type_S4_PS1_PS7_SA_.num_vgpr, 21
	.set _ZN9rocsparseL28internal_extract_fill_kernelILj1024EfllEEvT2_PKT1_PKS1_PKT0_21rocsparse_index_base_b20rocsparse_diag_type_S4_PS1_PS7_SA_.num_agpr, 0
	.set _ZN9rocsparseL28internal_extract_fill_kernelILj1024EfllEEvT2_PKT1_PKS1_PKT0_21rocsparse_index_base_b20rocsparse_diag_type_S4_PS1_PS7_SA_.numbered_sgpr, 19
	.set _ZN9rocsparseL28internal_extract_fill_kernelILj1024EfllEEvT2_PKT1_PKS1_PKT0_21rocsparse_index_base_b20rocsparse_diag_type_S4_PS1_PS7_SA_.num_named_barrier, 0
	.set _ZN9rocsparseL28internal_extract_fill_kernelILj1024EfllEEvT2_PKT1_PKS1_PKT0_21rocsparse_index_base_b20rocsparse_diag_type_S4_PS1_PS7_SA_.private_seg_size, 0
	.set _ZN9rocsparseL28internal_extract_fill_kernelILj1024EfllEEvT2_PKT1_PKS1_PKT0_21rocsparse_index_base_b20rocsparse_diag_type_S4_PS1_PS7_SA_.uses_vcc, 1
	.set _ZN9rocsparseL28internal_extract_fill_kernelILj1024EfllEEvT2_PKT1_PKS1_PKT0_21rocsparse_index_base_b20rocsparse_diag_type_S4_PS1_PS7_SA_.uses_flat_scratch, 0
	.set _ZN9rocsparseL28internal_extract_fill_kernelILj1024EfllEEvT2_PKT1_PKS1_PKT0_21rocsparse_index_base_b20rocsparse_diag_type_S4_PS1_PS7_SA_.has_dyn_sized_stack, 0
	.set _ZN9rocsparseL28internal_extract_fill_kernelILj1024EfllEEvT2_PKT1_PKS1_PKT0_21rocsparse_index_base_b20rocsparse_diag_type_S4_PS1_PS7_SA_.has_recursion, 0
	.set _ZN9rocsparseL28internal_extract_fill_kernelILj1024EfllEEvT2_PKT1_PKS1_PKT0_21rocsparse_index_base_b20rocsparse_diag_type_S4_PS1_PS7_SA_.has_indirect_call, 0
	.section	.AMDGPU.csdata,"",@progbits
; Kernel info:
; codeLenInByte = 612
; TotalNumSgprs: 23
; NumVgprs: 21
; ScratchSize: 0
; MemoryBound: 0
; FloatMode: 240
; IeeeMode: 1
; LDSByteSize: 0 bytes/workgroup (compile time only)
; SGPRBlocks: 2
; VGPRBlocks: 5
; NumSGPRsForWavesPerEU: 23
; NumVGPRsForWavesPerEU: 21
; Occupancy: 10
; WaveLimiterHint : 0
; COMPUTE_PGM_RSRC2:SCRATCH_EN: 0
; COMPUTE_PGM_RSRC2:USER_SGPR: 6
; COMPUTE_PGM_RSRC2:TRAP_HANDLER: 0
; COMPUTE_PGM_RSRC2:TGID_X_EN: 1
; COMPUTE_PGM_RSRC2:TGID_Y_EN: 0
; COMPUTE_PGM_RSRC2:TGID_Z_EN: 0
; COMPUTE_PGM_RSRC2:TIDIG_COMP_CNT: 0
	.section	.text._ZN9rocsparseL28internal_extract_fill_kernelILj1024EdiiEEvT2_PKT1_PKS1_PKT0_21rocsparse_index_base_b20rocsparse_diag_type_S4_PS1_PS7_SA_,"axG",@progbits,_ZN9rocsparseL28internal_extract_fill_kernelILj1024EdiiEEvT2_PKT1_PKS1_PKT0_21rocsparse_index_base_b20rocsparse_diag_type_S4_PS1_PS7_SA_,comdat
	.globl	_ZN9rocsparseL28internal_extract_fill_kernelILj1024EdiiEEvT2_PKT1_PKS1_PKT0_21rocsparse_index_base_b20rocsparse_diag_type_S4_PS1_PS7_SA_ ; -- Begin function _ZN9rocsparseL28internal_extract_fill_kernelILj1024EdiiEEvT2_PKT1_PKS1_PKT0_21rocsparse_index_base_b20rocsparse_diag_type_S4_PS1_PS7_SA_
	.p2align	8
	.type	_ZN9rocsparseL28internal_extract_fill_kernelILj1024EdiiEEvT2_PKT1_PKS1_PKT0_21rocsparse_index_base_b20rocsparse_diag_type_S4_PS1_PS7_SA_,@function
_ZN9rocsparseL28internal_extract_fill_kernelILj1024EdiiEEvT2_PKT1_PKS1_PKT0_21rocsparse_index_base_b20rocsparse_diag_type_S4_PS1_PS7_SA_: ; @_ZN9rocsparseL28internal_extract_fill_kernelILj1024EdiiEEvT2_PKT1_PKS1_PKT0_21rocsparse_index_base_b20rocsparse_diag_type_S4_PS1_PS7_SA_
; %bb.0:
	s_load_dword s0, s[4:5], 0x5c
	s_load_dword s1, s[4:5], 0x0
	s_waitcnt lgkmcnt(0)
	s_and_b32 s0, s0, 0xffff
	s_mul_i32 s6, s6, s0
	v_add_u32_e32 v0, s6, v0
	v_cmp_gt_i32_e32 vcc, s1, v0
	s_and_saveexec_b64 s[0:1], vcc
	s_cbranch_execz .LBB20_17
; %bb.1:
	s_load_dwordx2 s[0:1], s[4:5], 0x8
	v_ashrrev_i32_e32 v1, 31, v0
	v_lshlrev_b64 v[3:4], 2, v[0:1]
	s_waitcnt lgkmcnt(0)
	v_mov_b32_e32 v2, s1
	v_add_co_u32_e32 v1, vcc, s0, v3
	v_addc_co_u32_e32 v2, vcc, v2, v4, vcc
	global_load_dwordx2 v[1:2], v[1:2], off
	s_waitcnt vmcnt(0)
	v_cmp_lt_i32_e32 vcc, v1, v2
	s_and_b64 exec, exec, vcc
	s_cbranch_execz .LBB20_17
; %bb.2:
	s_load_dwordx4 s[0:3], s[4:5], 0x30
	s_waitcnt lgkmcnt(0)
	v_mov_b32_e32 v5, s1
	v_add_co_u32_e32 v3, vcc, s0, v3
	v_addc_co_u32_e32 v4, vcc, v5, v4, vcc
	global_load_dword v7, v[3:4], off
	s_load_dwordx8 s[8:15], s[4:5], 0x10
	s_load_dwordx2 s[0:1], s[4:5], 0x40
	s_load_dword s16, s[4:5], 0x48
	s_waitcnt lgkmcnt(0)
	v_subrev_u32_e32 v1, s12, v1
	v_subrev_u32_e32 v8, s12, v2
	v_ashrrev_i32_e32 v2, 31, v1
	v_lshlrev_b64 v[3:4], 2, v[1:2]
	s_bitcmp1_b32 s13, 0
	v_mov_b32_e32 v9, s9
	s_cselect_b64 s[4:5], -1, 0
	v_lshlrev_b64 v[5:6], 3, v[1:2]
	v_add_co_u32_e32 v2, vcc, s8, v3
	s_xor_b64 s[4:5], s[4:5], -1
	v_addc_co_u32_e32 v3, vcc, v9, v4, vcc
	v_mov_b32_e32 v10, s11
	s_cmp_lg_u32 s14, 1
	v_add_co_u32_e32 v4, vcc, s10, v5
	s_cselect_b64 s[6:7], -1, 0
	v_addc_co_u32_e32 v5, vcc, v10, v6, vcc
	s_mov_b64 s[8:9], 0
	s_waitcnt vmcnt(0)
	v_subrev_u32_e32 v6, s16, v7
	s_branch .LBB20_4
.LBB20_3:                               ;   in Loop: Header=BB20_4 Depth=1
	s_or_b64 exec, exec, s[14:15]
	v_add_co_u32_e32 v2, vcc, 4, v2
	v_add_u32_e32 v1, 1, v1
	v_addc_co_u32_e32 v3, vcc, 0, v3, vcc
	v_cmp_ge_i32_e32 vcc, v1, v8
	s_or_b64 s[8:9], vcc, s[8:9]
	v_add_co_u32_e32 v4, vcc, 8, v4
	v_addc_co_u32_e32 v5, vcc, 0, v5, vcc
	s_andn2_b64 exec, exec, s[8:9]
	s_cbranch_execz .LBB20_17
.LBB20_4:                               ; =>This Inner Loop Header: Depth=1
	global_load_dword v7, v[2:3], off
	s_and_b64 vcc, exec, s[4:5]
	s_mov_b64 s[14:15], -1
                                        ; implicit-def: $sgpr10_sgpr11
	s_waitcnt vmcnt(0)
	v_subrev_u32_e32 v9, s12, v7
	s_cbranch_vccz .LBB20_10
; %bb.5:                                ;   in Loop: Header=BB20_4 Depth=1
	s_and_b64 vcc, exec, s[6:7]
                                        ; implicit-def: $sgpr10_sgpr11
	s_cbranch_vccz .LBB20_7
; %bb.6:                                ;   in Loop: Header=BB20_4 Depth=1
	v_cmp_le_i32_e64 s[10:11], v0, v9
	s_mov_b64 s[14:15], 0
.LBB20_7:                               ;   in Loop: Header=BB20_4 Depth=1
	s_andn2_b64 vcc, exec, s[14:15]
	s_cbranch_vccnz .LBB20_9
; %bb.8:                                ;   in Loop: Header=BB20_4 Depth=1
	v_cmp_lt_i32_e32 vcc, v0, v9
	s_andn2_b64 s[10:11], s[10:11], exec
	s_and_b64 s[14:15], vcc, exec
	s_or_b64 s[10:11], s[10:11], s[14:15]
.LBB20_9:                               ;   in Loop: Header=BB20_4 Depth=1
	s_mov_b64 s[14:15], 0
.LBB20_10:                              ;   in Loop: Header=BB20_4 Depth=1
	s_andn2_b64 vcc, exec, s[14:15]
	s_cbranch_vccnz .LBB20_15
; %bb.11:                               ;   in Loop: Header=BB20_4 Depth=1
	s_mov_b64 s[14:15], -1
	s_and_b64 vcc, exec, s[6:7]
                                        ; implicit-def: $sgpr10_sgpr11
	s_cbranch_vccz .LBB20_13
; %bb.12:                               ;   in Loop: Header=BB20_4 Depth=1
	v_cmp_ge_i32_e64 s[10:11], v0, v9
	s_mov_b64 s[14:15], 0
.LBB20_13:                              ;   in Loop: Header=BB20_4 Depth=1
	s_andn2_b64 vcc, exec, s[14:15]
	s_cbranch_vccnz .LBB20_15
; %bb.14:                               ;   in Loop: Header=BB20_4 Depth=1
	v_cmp_gt_i32_e32 vcc, v0, v9
	s_andn2_b64 s[10:11], s[10:11], exec
	s_and_b64 s[14:15], vcc, exec
	s_or_b64 s[10:11], s[10:11], s[14:15]
.LBB20_15:                              ;   in Loop: Header=BB20_4 Depth=1
	s_and_saveexec_b64 s[14:15], s[10:11]
	s_cbranch_execz .LBB20_3
; %bb.16:                               ;   in Loop: Header=BB20_4 Depth=1
	global_load_dwordx2 v[10:11], v[4:5], off
	v_ashrrev_i32_e32 v7, 31, v6
	v_lshlrev_b64 v[12:13], 3, v[6:7]
	v_add_u32_e32 v14, 1, v6
	v_mov_b32_e32 v15, s1
	v_lshlrev_b64 v[6:7], 2, v[6:7]
	v_add_co_u32_e32 v12, vcc, s0, v12
	v_addc_co_u32_e32 v13, vcc, v15, v13, vcc
	v_mov_b32_e32 v16, s3
	v_add_co_u32_e32 v6, vcc, s2, v6
	v_add_u32_e32 v9, s16, v9
	v_addc_co_u32_e32 v7, vcc, v16, v7, vcc
	global_store_dword v[6:7], v9, off
	s_waitcnt vmcnt(1)
	global_store_dwordx2 v[12:13], v[10:11], off
	v_mov_b32_e32 v6, v14
	s_branch .LBB20_3
.LBB20_17:
	s_endpgm
	.section	.rodata,"a",@progbits
	.p2align	6, 0x0
	.amdhsa_kernel _ZN9rocsparseL28internal_extract_fill_kernelILj1024EdiiEEvT2_PKT1_PKS1_PKT0_21rocsparse_index_base_b20rocsparse_diag_type_S4_PS1_PS7_SA_
		.amdhsa_group_segment_fixed_size 0
		.amdhsa_private_segment_fixed_size 0
		.amdhsa_kernarg_size 336
		.amdhsa_user_sgpr_count 6
		.amdhsa_user_sgpr_private_segment_buffer 1
		.amdhsa_user_sgpr_dispatch_ptr 0
		.amdhsa_user_sgpr_queue_ptr 0
		.amdhsa_user_sgpr_kernarg_segment_ptr 1
		.amdhsa_user_sgpr_dispatch_id 0
		.amdhsa_user_sgpr_flat_scratch_init 0
		.amdhsa_user_sgpr_private_segment_size 0
		.amdhsa_uses_dynamic_stack 0
		.amdhsa_system_sgpr_private_segment_wavefront_offset 0
		.amdhsa_system_sgpr_workgroup_id_x 1
		.amdhsa_system_sgpr_workgroup_id_y 0
		.amdhsa_system_sgpr_workgroup_id_z 0
		.amdhsa_system_sgpr_workgroup_info 0
		.amdhsa_system_vgpr_workitem_id 0
		.amdhsa_next_free_vgpr 17
		.amdhsa_next_free_sgpr 17
		.amdhsa_reserve_vcc 1
		.amdhsa_reserve_flat_scratch 0
		.amdhsa_float_round_mode_32 0
		.amdhsa_float_round_mode_16_64 0
		.amdhsa_float_denorm_mode_32 3
		.amdhsa_float_denorm_mode_16_64 3
		.amdhsa_dx10_clamp 1
		.amdhsa_ieee_mode 1
		.amdhsa_fp16_overflow 0
		.amdhsa_exception_fp_ieee_invalid_op 0
		.amdhsa_exception_fp_denorm_src 0
		.amdhsa_exception_fp_ieee_div_zero 0
		.amdhsa_exception_fp_ieee_overflow 0
		.amdhsa_exception_fp_ieee_underflow 0
		.amdhsa_exception_fp_ieee_inexact 0
		.amdhsa_exception_int_div_zero 0
	.end_amdhsa_kernel
	.section	.text._ZN9rocsparseL28internal_extract_fill_kernelILj1024EdiiEEvT2_PKT1_PKS1_PKT0_21rocsparse_index_base_b20rocsparse_diag_type_S4_PS1_PS7_SA_,"axG",@progbits,_ZN9rocsparseL28internal_extract_fill_kernelILj1024EdiiEEvT2_PKT1_PKS1_PKT0_21rocsparse_index_base_b20rocsparse_diag_type_S4_PS1_PS7_SA_,comdat
.Lfunc_end20:
	.size	_ZN9rocsparseL28internal_extract_fill_kernelILj1024EdiiEEvT2_PKT1_PKS1_PKT0_21rocsparse_index_base_b20rocsparse_diag_type_S4_PS1_PS7_SA_, .Lfunc_end20-_ZN9rocsparseL28internal_extract_fill_kernelILj1024EdiiEEvT2_PKT1_PKS1_PKT0_21rocsparse_index_base_b20rocsparse_diag_type_S4_PS1_PS7_SA_
                                        ; -- End function
	.set _ZN9rocsparseL28internal_extract_fill_kernelILj1024EdiiEEvT2_PKT1_PKS1_PKT0_21rocsparse_index_base_b20rocsparse_diag_type_S4_PS1_PS7_SA_.num_vgpr, 17
	.set _ZN9rocsparseL28internal_extract_fill_kernelILj1024EdiiEEvT2_PKT1_PKS1_PKT0_21rocsparse_index_base_b20rocsparse_diag_type_S4_PS1_PS7_SA_.num_agpr, 0
	.set _ZN9rocsparseL28internal_extract_fill_kernelILj1024EdiiEEvT2_PKT1_PKS1_PKT0_21rocsparse_index_base_b20rocsparse_diag_type_S4_PS1_PS7_SA_.numbered_sgpr, 17
	.set _ZN9rocsparseL28internal_extract_fill_kernelILj1024EdiiEEvT2_PKT1_PKS1_PKT0_21rocsparse_index_base_b20rocsparse_diag_type_S4_PS1_PS7_SA_.num_named_barrier, 0
	.set _ZN9rocsparseL28internal_extract_fill_kernelILj1024EdiiEEvT2_PKT1_PKS1_PKT0_21rocsparse_index_base_b20rocsparse_diag_type_S4_PS1_PS7_SA_.private_seg_size, 0
	.set _ZN9rocsparseL28internal_extract_fill_kernelILj1024EdiiEEvT2_PKT1_PKS1_PKT0_21rocsparse_index_base_b20rocsparse_diag_type_S4_PS1_PS7_SA_.uses_vcc, 1
	.set _ZN9rocsparseL28internal_extract_fill_kernelILj1024EdiiEEvT2_PKT1_PKS1_PKT0_21rocsparse_index_base_b20rocsparse_diag_type_S4_PS1_PS7_SA_.uses_flat_scratch, 0
	.set _ZN9rocsparseL28internal_extract_fill_kernelILj1024EdiiEEvT2_PKT1_PKS1_PKT0_21rocsparse_index_base_b20rocsparse_diag_type_S4_PS1_PS7_SA_.has_dyn_sized_stack, 0
	.set _ZN9rocsparseL28internal_extract_fill_kernelILj1024EdiiEEvT2_PKT1_PKS1_PKT0_21rocsparse_index_base_b20rocsparse_diag_type_S4_PS1_PS7_SA_.has_recursion, 0
	.set _ZN9rocsparseL28internal_extract_fill_kernelILj1024EdiiEEvT2_PKT1_PKS1_PKT0_21rocsparse_index_base_b20rocsparse_diag_type_S4_PS1_PS7_SA_.has_indirect_call, 0
	.section	.AMDGPU.csdata,"",@progbits
; Kernel info:
; codeLenInByte = 528
; TotalNumSgprs: 21
; NumVgprs: 17
; ScratchSize: 0
; MemoryBound: 0
; FloatMode: 240
; IeeeMode: 1
; LDSByteSize: 0 bytes/workgroup (compile time only)
; SGPRBlocks: 2
; VGPRBlocks: 4
; NumSGPRsForWavesPerEU: 21
; NumVGPRsForWavesPerEU: 17
; Occupancy: 10
; WaveLimiterHint : 0
; COMPUTE_PGM_RSRC2:SCRATCH_EN: 0
; COMPUTE_PGM_RSRC2:USER_SGPR: 6
; COMPUTE_PGM_RSRC2:TRAP_HANDLER: 0
; COMPUTE_PGM_RSRC2:TGID_X_EN: 1
; COMPUTE_PGM_RSRC2:TGID_Y_EN: 0
; COMPUTE_PGM_RSRC2:TGID_Z_EN: 0
; COMPUTE_PGM_RSRC2:TIDIG_COMP_CNT: 0
	.section	.text._ZN9rocsparseL28internal_extract_fill_kernelILj1024EdilEEvT2_PKT1_PKS1_PKT0_21rocsparse_index_base_b20rocsparse_diag_type_S4_PS1_PS7_SA_,"axG",@progbits,_ZN9rocsparseL28internal_extract_fill_kernelILj1024EdilEEvT2_PKT1_PKS1_PKT0_21rocsparse_index_base_b20rocsparse_diag_type_S4_PS1_PS7_SA_,comdat
	.globl	_ZN9rocsparseL28internal_extract_fill_kernelILj1024EdilEEvT2_PKT1_PKS1_PKT0_21rocsparse_index_base_b20rocsparse_diag_type_S4_PS1_PS7_SA_ ; -- Begin function _ZN9rocsparseL28internal_extract_fill_kernelILj1024EdilEEvT2_PKT1_PKS1_PKT0_21rocsparse_index_base_b20rocsparse_diag_type_S4_PS1_PS7_SA_
	.p2align	8
	.type	_ZN9rocsparseL28internal_extract_fill_kernelILj1024EdilEEvT2_PKT1_PKS1_PKT0_21rocsparse_index_base_b20rocsparse_diag_type_S4_PS1_PS7_SA_,@function
_ZN9rocsparseL28internal_extract_fill_kernelILj1024EdilEEvT2_PKT1_PKS1_PKT0_21rocsparse_index_base_b20rocsparse_diag_type_S4_PS1_PS7_SA_: ; @_ZN9rocsparseL28internal_extract_fill_kernelILj1024EdilEEvT2_PKT1_PKS1_PKT0_21rocsparse_index_base_b20rocsparse_diag_type_S4_PS1_PS7_SA_
; %bb.0:
	s_load_dword s2, s[4:5], 0x5c
	s_load_dwordx2 s[0:1], s[4:5], 0x0
	s_waitcnt lgkmcnt(0)
	s_and_b32 s2, s2, 0xffff
	s_mul_i32 s6, s6, s2
	v_add_u32_e32 v0, s6, v0
	v_ashrrev_i32_e32 v1, 31, v0
	v_cmp_gt_i64_e32 vcc, s[0:1], v[0:1]
	s_and_saveexec_b64 s[0:1], vcc
	s_cbranch_execz .LBB21_17
; %bb.1:
	s_load_dwordx2 s[0:1], s[4:5], 0x8
	v_lshlrev_b64 v[4:5], 2, v[0:1]
	s_waitcnt lgkmcnt(0)
	v_mov_b32_e32 v3, s1
	v_add_co_u32_e32 v2, vcc, s0, v4
	v_addc_co_u32_e32 v3, vcc, v3, v5, vcc
	global_load_dwordx2 v[2:3], v[2:3], off
	s_waitcnt vmcnt(0)
	v_cmp_lt_i32_e32 vcc, v2, v3
	s_and_b64 exec, exec, vcc
	s_cbranch_execz .LBB21_17
; %bb.2:
	s_load_dwordx4 s[0:3], s[4:5], 0x30
	s_waitcnt lgkmcnt(0)
	v_mov_b32_e32 v6, s1
	v_add_co_u32_e32 v4, vcc, s0, v4
	v_addc_co_u32_e32 v5, vcc, v6, v5, vcc
	global_load_dword v7, v[4:5], off
	s_load_dwordx8 s[8:15], s[4:5], 0x10
	s_load_dwordx2 s[6:7], s[4:5], 0x40
	s_load_dword s18, s[4:5], 0x48
	s_waitcnt lgkmcnt(0)
	v_subrev_u32_e32 v2, s12, v2
	v_subrev_u32_e32 v11, s12, v3
	v_ashrrev_i32_e32 v3, 31, v2
	v_lshlrev_b64 v[5:6], 3, v[2:3]
	s_bitcmp1_b32 s13, 0
	v_mov_b32_e32 v4, s9
	s_cselect_b64 s[0:1], -1, 0
	v_add_co_u32_e32 v3, vcc, s8, v5
	s_xor_b64 s[4:5], s[0:1], -1
	v_addc_co_u32_e32 v4, vcc, v4, v6, vcc
	v_mov_b32_e32 v8, s11
	s_cmp_lg_u32 s14, 1
	v_add_co_u32_e32 v5, vcc, s10, v5
	s_cselect_b64 s[14:15], -1, 0
	v_addc_co_u32_e32 v6, vcc, v8, v6, vcc
	s_mov_b64 s[8:9], 0
	s_waitcnt vmcnt(0)
	v_subrev_u32_e32 v7, s18, v7
	s_branch .LBB21_4
.LBB21_3:                               ;   in Loop: Header=BB21_4 Depth=1
	s_or_b64 exec, exec, s[0:1]
	v_add_co_u32_e32 v3, vcc, 8, v3
	v_add_u32_e32 v2, 1, v2
	v_addc_co_u32_e32 v4, vcc, 0, v4, vcc
	v_cmp_ge_i32_e32 vcc, v2, v11
	s_or_b64 s[8:9], vcc, s[8:9]
	v_add_co_u32_e32 v5, vcc, 8, v5
	v_addc_co_u32_e32 v6, vcc, 0, v6, vcc
	s_andn2_b64 exec, exec, s[8:9]
	s_cbranch_execz .LBB21_17
.LBB21_4:                               ; =>This Inner Loop Header: Depth=1
	global_load_dwordx2 v[9:10], v[3:4], off
	s_and_b64 vcc, exec, s[4:5]
	s_mov_b64 s[16:17], -1
                                        ; implicit-def: $sgpr10_sgpr11
	s_waitcnt vmcnt(0)
	v_subrev_co_u32_e64 v9, s[0:1], s12, v9
	v_subbrev_co_u32_e64 v10, s[0:1], 0, v10, s[0:1]
	s_cbranch_vccz .LBB21_10
; %bb.5:                                ;   in Loop: Header=BB21_4 Depth=1
	s_mov_b64 s[0:1], -1
	s_and_b64 vcc, exec, s[14:15]
                                        ; implicit-def: $sgpr10_sgpr11
	s_cbranch_vccz .LBB21_7
; %bb.6:                                ;   in Loop: Header=BB21_4 Depth=1
	v_cmp_ge_i64_e64 s[10:11], v[9:10], v[0:1]
	s_mov_b64 s[0:1], 0
.LBB21_7:                               ;   in Loop: Header=BB21_4 Depth=1
	s_andn2_b64 vcc, exec, s[0:1]
	s_cbranch_vccnz .LBB21_9
; %bb.8:                                ;   in Loop: Header=BB21_4 Depth=1
	v_cmp_gt_i64_e32 vcc, v[9:10], v[0:1]
	s_andn2_b64 s[0:1], s[10:11], exec
	s_and_b64 s[10:11], vcc, exec
	s_or_b64 s[10:11], s[0:1], s[10:11]
.LBB21_9:                               ;   in Loop: Header=BB21_4 Depth=1
	s_mov_b64 s[16:17], 0
.LBB21_10:                              ;   in Loop: Header=BB21_4 Depth=1
	s_andn2_b64 vcc, exec, s[16:17]
	s_cbranch_vccnz .LBB21_15
; %bb.11:                               ;   in Loop: Header=BB21_4 Depth=1
	s_mov_b64 s[0:1], -1
	s_and_b64 vcc, exec, s[14:15]
                                        ; implicit-def: $sgpr10_sgpr11
	s_cbranch_vccz .LBB21_13
; %bb.12:                               ;   in Loop: Header=BB21_4 Depth=1
	v_cmp_le_i64_e64 s[10:11], v[9:10], v[0:1]
	s_mov_b64 s[0:1], 0
.LBB21_13:                              ;   in Loop: Header=BB21_4 Depth=1
	s_andn2_b64 vcc, exec, s[0:1]
	s_cbranch_vccnz .LBB21_15
; %bb.14:                               ;   in Loop: Header=BB21_4 Depth=1
	v_cmp_lt_i64_e32 vcc, v[9:10], v[0:1]
	s_andn2_b64 s[0:1], s[10:11], exec
	s_and_b64 s[10:11], vcc, exec
	s_or_b64 s[10:11], s[0:1], s[10:11]
.LBB21_15:                              ;   in Loop: Header=BB21_4 Depth=1
	s_and_saveexec_b64 s[0:1], s[10:11]
	s_cbranch_execz .LBB21_3
; %bb.16:                               ;   in Loop: Header=BB21_4 Depth=1
	global_load_dwordx2 v[12:13], v[5:6], off
	v_ashrrev_i32_e32 v8, 31, v7
	v_add_u32_e32 v16, 1, v7
	v_add_co_u32_e32 v9, vcc, s18, v9
	v_lshlrev_b64 v[7:8], 3, v[7:8]
	v_addc_co_u32_e32 v10, vcc, 0, v10, vcc
	v_mov_b32_e32 v15, s7
	v_add_co_u32_e32 v14, vcc, s6, v7
	v_addc_co_u32_e32 v15, vcc, v15, v8, vcc
	v_mov_b32_e32 v17, s3
	v_add_co_u32_e32 v7, vcc, s2, v7
	v_addc_co_u32_e32 v8, vcc, v17, v8, vcc
	global_store_dwordx2 v[7:8], v[9:10], off
	s_waitcnt vmcnt(1)
	global_store_dwordx2 v[14:15], v[12:13], off
	v_mov_b32_e32 v7, v16
	s_branch .LBB21_3
.LBB21_17:
	s_endpgm
	.section	.rodata,"a",@progbits
	.p2align	6, 0x0
	.amdhsa_kernel _ZN9rocsparseL28internal_extract_fill_kernelILj1024EdilEEvT2_PKT1_PKS1_PKT0_21rocsparse_index_base_b20rocsparse_diag_type_S4_PS1_PS7_SA_
		.amdhsa_group_segment_fixed_size 0
		.amdhsa_private_segment_fixed_size 0
		.amdhsa_kernarg_size 336
		.amdhsa_user_sgpr_count 6
		.amdhsa_user_sgpr_private_segment_buffer 1
		.amdhsa_user_sgpr_dispatch_ptr 0
		.amdhsa_user_sgpr_queue_ptr 0
		.amdhsa_user_sgpr_kernarg_segment_ptr 1
		.amdhsa_user_sgpr_dispatch_id 0
		.amdhsa_user_sgpr_flat_scratch_init 0
		.amdhsa_user_sgpr_private_segment_size 0
		.amdhsa_uses_dynamic_stack 0
		.amdhsa_system_sgpr_private_segment_wavefront_offset 0
		.amdhsa_system_sgpr_workgroup_id_x 1
		.amdhsa_system_sgpr_workgroup_id_y 0
		.amdhsa_system_sgpr_workgroup_id_z 0
		.amdhsa_system_sgpr_workgroup_info 0
		.amdhsa_system_vgpr_workitem_id 0
		.amdhsa_next_free_vgpr 18
		.amdhsa_next_free_sgpr 19
		.amdhsa_reserve_vcc 1
		.amdhsa_reserve_flat_scratch 0
		.amdhsa_float_round_mode_32 0
		.amdhsa_float_round_mode_16_64 0
		.amdhsa_float_denorm_mode_32 3
		.amdhsa_float_denorm_mode_16_64 3
		.amdhsa_dx10_clamp 1
		.amdhsa_ieee_mode 1
		.amdhsa_fp16_overflow 0
		.amdhsa_exception_fp_ieee_invalid_op 0
		.amdhsa_exception_fp_denorm_src 0
		.amdhsa_exception_fp_ieee_div_zero 0
		.amdhsa_exception_fp_ieee_overflow 0
		.amdhsa_exception_fp_ieee_underflow 0
		.amdhsa_exception_fp_ieee_inexact 0
		.amdhsa_exception_int_div_zero 0
	.end_amdhsa_kernel
	.section	.text._ZN9rocsparseL28internal_extract_fill_kernelILj1024EdilEEvT2_PKT1_PKS1_PKT0_21rocsparse_index_base_b20rocsparse_diag_type_S4_PS1_PS7_SA_,"axG",@progbits,_ZN9rocsparseL28internal_extract_fill_kernelILj1024EdilEEvT2_PKT1_PKS1_PKT0_21rocsparse_index_base_b20rocsparse_diag_type_S4_PS1_PS7_SA_,comdat
.Lfunc_end21:
	.size	_ZN9rocsparseL28internal_extract_fill_kernelILj1024EdilEEvT2_PKT1_PKS1_PKT0_21rocsparse_index_base_b20rocsparse_diag_type_S4_PS1_PS7_SA_, .Lfunc_end21-_ZN9rocsparseL28internal_extract_fill_kernelILj1024EdilEEvT2_PKT1_PKS1_PKT0_21rocsparse_index_base_b20rocsparse_diag_type_S4_PS1_PS7_SA_
                                        ; -- End function
	.set _ZN9rocsparseL28internal_extract_fill_kernelILj1024EdilEEvT2_PKT1_PKS1_PKT0_21rocsparse_index_base_b20rocsparse_diag_type_S4_PS1_PS7_SA_.num_vgpr, 18
	.set _ZN9rocsparseL28internal_extract_fill_kernelILj1024EdilEEvT2_PKT1_PKS1_PKT0_21rocsparse_index_base_b20rocsparse_diag_type_S4_PS1_PS7_SA_.num_agpr, 0
	.set _ZN9rocsparseL28internal_extract_fill_kernelILj1024EdilEEvT2_PKT1_PKS1_PKT0_21rocsparse_index_base_b20rocsparse_diag_type_S4_PS1_PS7_SA_.numbered_sgpr, 19
	.set _ZN9rocsparseL28internal_extract_fill_kernelILj1024EdilEEvT2_PKT1_PKS1_PKT0_21rocsparse_index_base_b20rocsparse_diag_type_S4_PS1_PS7_SA_.num_named_barrier, 0
	.set _ZN9rocsparseL28internal_extract_fill_kernelILj1024EdilEEvT2_PKT1_PKS1_PKT0_21rocsparse_index_base_b20rocsparse_diag_type_S4_PS1_PS7_SA_.private_seg_size, 0
	.set _ZN9rocsparseL28internal_extract_fill_kernelILj1024EdilEEvT2_PKT1_PKS1_PKT0_21rocsparse_index_base_b20rocsparse_diag_type_S4_PS1_PS7_SA_.uses_vcc, 1
	.set _ZN9rocsparseL28internal_extract_fill_kernelILj1024EdilEEvT2_PKT1_PKS1_PKT0_21rocsparse_index_base_b20rocsparse_diag_type_S4_PS1_PS7_SA_.uses_flat_scratch, 0
	.set _ZN9rocsparseL28internal_extract_fill_kernelILj1024EdilEEvT2_PKT1_PKS1_PKT0_21rocsparse_index_base_b20rocsparse_diag_type_S4_PS1_PS7_SA_.has_dyn_sized_stack, 0
	.set _ZN9rocsparseL28internal_extract_fill_kernelILj1024EdilEEvT2_PKT1_PKS1_PKT0_21rocsparse_index_base_b20rocsparse_diag_type_S4_PS1_PS7_SA_.has_recursion, 0
	.set _ZN9rocsparseL28internal_extract_fill_kernelILj1024EdilEEvT2_PKT1_PKS1_PKT0_21rocsparse_index_base_b20rocsparse_diag_type_S4_PS1_PS7_SA_.has_indirect_call, 0
	.section	.AMDGPU.csdata,"",@progbits
; Kernel info:
; codeLenInByte = 532
; TotalNumSgprs: 23
; NumVgprs: 18
; ScratchSize: 0
; MemoryBound: 0
; FloatMode: 240
; IeeeMode: 1
; LDSByteSize: 0 bytes/workgroup (compile time only)
; SGPRBlocks: 2
; VGPRBlocks: 4
; NumSGPRsForWavesPerEU: 23
; NumVGPRsForWavesPerEU: 18
; Occupancy: 10
; WaveLimiterHint : 0
; COMPUTE_PGM_RSRC2:SCRATCH_EN: 0
; COMPUTE_PGM_RSRC2:USER_SGPR: 6
; COMPUTE_PGM_RSRC2:TRAP_HANDLER: 0
; COMPUTE_PGM_RSRC2:TGID_X_EN: 1
; COMPUTE_PGM_RSRC2:TGID_Y_EN: 0
; COMPUTE_PGM_RSRC2:TGID_Z_EN: 0
; COMPUTE_PGM_RSRC2:TIDIG_COMP_CNT: 0
	.section	.text._ZN9rocsparseL28internal_extract_fill_kernelILj1024EdliEEvT2_PKT1_PKS1_PKT0_21rocsparse_index_base_b20rocsparse_diag_type_S4_PS1_PS7_SA_,"axG",@progbits,_ZN9rocsparseL28internal_extract_fill_kernelILj1024EdliEEvT2_PKT1_PKS1_PKT0_21rocsparse_index_base_b20rocsparse_diag_type_S4_PS1_PS7_SA_,comdat
	.globl	_ZN9rocsparseL28internal_extract_fill_kernelILj1024EdliEEvT2_PKT1_PKS1_PKT0_21rocsparse_index_base_b20rocsparse_diag_type_S4_PS1_PS7_SA_ ; -- Begin function _ZN9rocsparseL28internal_extract_fill_kernelILj1024EdliEEvT2_PKT1_PKS1_PKT0_21rocsparse_index_base_b20rocsparse_diag_type_S4_PS1_PS7_SA_
	.p2align	8
	.type	_ZN9rocsparseL28internal_extract_fill_kernelILj1024EdliEEvT2_PKT1_PKS1_PKT0_21rocsparse_index_base_b20rocsparse_diag_type_S4_PS1_PS7_SA_,@function
_ZN9rocsparseL28internal_extract_fill_kernelILj1024EdliEEvT2_PKT1_PKS1_PKT0_21rocsparse_index_base_b20rocsparse_diag_type_S4_PS1_PS7_SA_: ; @_ZN9rocsparseL28internal_extract_fill_kernelILj1024EdliEEvT2_PKT1_PKS1_PKT0_21rocsparse_index_base_b20rocsparse_diag_type_S4_PS1_PS7_SA_
; %bb.0:
	s_load_dword s0, s[4:5], 0x0
	s_load_dword s2, s[4:5], 0x5c
	v_mov_b32_e32 v5, 0
	s_waitcnt lgkmcnt(0)
	s_ashr_i32 s1, s0, 31
	s_and_b32 s2, s2, 0xffff
	s_mul_i32 s6, s6, s2
	v_add_u32_e32 v4, s6, v0
	v_cmp_gt_i64_e32 vcc, s[0:1], v[4:5]
	s_and_saveexec_b64 s[0:1], vcc
	s_cbranch_execz .LBB22_17
; %bb.1:
	s_load_dwordx2 s[0:1], s[4:5], 0x8
	v_lshlrev_b64 v[5:6], 3, v[4:5]
	s_waitcnt lgkmcnt(0)
	v_mov_b32_e32 v1, s1
	v_add_co_u32_e32 v0, vcc, s0, v5
	v_addc_co_u32_e32 v1, vcc, v1, v6, vcc
	global_load_dwordx4 v[0:3], v[0:1], off
	s_waitcnt vmcnt(0)
	v_cmp_lt_i64_e32 vcc, v[0:1], v[2:3]
	s_and_b64 exec, exec, vcc
	s_cbranch_execz .LBB22_17
; %bb.2:
	s_load_dwordx4 s[0:3], s[4:5], 0x30
	s_waitcnt lgkmcnt(0)
	v_mov_b32_e32 v7, s1
	v_add_co_u32_e32 v5, vcc, s0, v5
	v_addc_co_u32_e32 v6, vcc, v7, v6, vcc
	global_load_dwordx2 v[9:10], v[5:6], off
	s_load_dwordx2 s[6:7], s[4:5], 0x40
	s_load_dwordx8 s[8:15], s[4:5], 0x10
	s_load_dword s16, s[4:5], 0x48
	s_mov_b32 s1, 0
	v_lshlrev_b64 v[5:6], 3, v[0:1]
	v_lshlrev_b64 v[7:8], 2, v[0:1]
	s_waitcnt lgkmcnt(0)
	s_bitcmp1_b32 s13, 0
	v_subrev_co_u32_e32 v2, vcc, s12, v2
	s_cselect_b64 s[4:5], -1, 0
	v_subbrev_co_u32_e32 v3, vcc, 0, v3, vcc
	s_xor_b64 s[4:5], s[4:5], -1
	s_mov_b32 s0, s12
	v_subrev_co_u32_e32 v0, vcc, s12, v0
	s_cmp_lg_u32 s14, 1
	v_subbrev_co_u32_e32 v1, vcc, 0, v1, vcc
	s_cselect_b64 s[14:15], -1, 0
	s_lshl_b64 s[18:19], s[0:1], 3
	v_mov_b32_e32 v13, s19
	v_subrev_co_u32_e32 v5, vcc, s18, v5
	s_lshl_b64 s[0:1], s[0:1], 2
	v_subb_co_u32_e32 v6, vcc, v6, v13, vcc
	v_mov_b32_e32 v14, s1
	v_subrev_co_u32_e32 v7, vcc, s0, v7
	v_subb_co_u32_e32 v8, vcc, v8, v14, vcc
	v_mov_b32_e32 v11, s11
	v_add_co_u32_e32 v5, vcc, s10, v5
	v_addc_co_u32_e32 v6, vcc, v11, v6, vcc
	v_mov_b32_e32 v12, s9
	v_add_co_u32_e32 v7, vcc, s8, v7
	v_addc_co_u32_e32 v8, vcc, v12, v8, vcc
	s_mov_b64 s[8:9], 0
	s_waitcnt vmcnt(0)
	v_subrev_co_u32_e32 v9, vcc, s16, v9
	v_subbrev_co_u32_e32 v10, vcc, 0, v10, vcc
	s_branch .LBB22_4
.LBB22_3:                               ;   in Loop: Header=BB22_4 Depth=1
	s_or_b64 exec, exec, s[10:11]
	v_add_co_u32_e32 v0, vcc, 1, v0
	v_addc_co_u32_e32 v1, vcc, 0, v1, vcc
	v_cmp_ge_i64_e32 vcc, v[0:1], v[2:3]
	v_add_co_u32_e64 v5, s[0:1], 8, v5
	s_or_b64 s[8:9], vcc, s[8:9]
	v_add_co_u32_e32 v7, vcc, 4, v7
	v_addc_co_u32_e64 v6, s[0:1], 0, v6, s[0:1]
	v_addc_co_u32_e32 v8, vcc, 0, v8, vcc
	s_andn2_b64 exec, exec, s[8:9]
	s_cbranch_execz .LBB22_17
.LBB22_4:                               ; =>This Inner Loop Header: Depth=1
	global_load_dword v11, v[7:8], off
	s_and_b64 vcc, exec, s[4:5]
	s_mov_b64 s[10:11], -1
                                        ; implicit-def: $sgpr0_sgpr1
	s_waitcnt vmcnt(0)
	v_subrev_u32_e32 v11, s12, v11
	s_cbranch_vccz .LBB22_10
; %bb.5:                                ;   in Loop: Header=BB22_4 Depth=1
	s_and_b64 vcc, exec, s[14:15]
                                        ; implicit-def: $sgpr0_sgpr1
	s_cbranch_vccz .LBB22_7
; %bb.6:                                ;   in Loop: Header=BB22_4 Depth=1
	v_cmp_le_i32_e64 s[0:1], v4, v11
	s_mov_b64 s[10:11], 0
.LBB22_7:                               ;   in Loop: Header=BB22_4 Depth=1
	s_andn2_b64 vcc, exec, s[10:11]
	s_cbranch_vccnz .LBB22_9
; %bb.8:                                ;   in Loop: Header=BB22_4 Depth=1
	v_cmp_lt_i32_e32 vcc, v4, v11
	s_andn2_b64 s[0:1], s[0:1], exec
	s_and_b64 s[10:11], vcc, exec
	s_or_b64 s[0:1], s[0:1], s[10:11]
.LBB22_9:                               ;   in Loop: Header=BB22_4 Depth=1
	s_mov_b64 s[10:11], 0
.LBB22_10:                              ;   in Loop: Header=BB22_4 Depth=1
	s_andn2_b64 vcc, exec, s[10:11]
	s_cbranch_vccnz .LBB22_15
; %bb.11:                               ;   in Loop: Header=BB22_4 Depth=1
	s_mov_b64 s[10:11], -1
	s_and_b64 vcc, exec, s[14:15]
                                        ; implicit-def: $sgpr0_sgpr1
	s_cbranch_vccz .LBB22_13
; %bb.12:                               ;   in Loop: Header=BB22_4 Depth=1
	v_cmp_ge_i32_e64 s[0:1], v4, v11
	s_mov_b64 s[10:11], 0
.LBB22_13:                              ;   in Loop: Header=BB22_4 Depth=1
	s_andn2_b64 vcc, exec, s[10:11]
	s_cbranch_vccnz .LBB22_15
; %bb.14:                               ;   in Loop: Header=BB22_4 Depth=1
	v_cmp_gt_i32_e32 vcc, v4, v11
	s_andn2_b64 s[0:1], s[0:1], exec
	s_and_b64 s[10:11], vcc, exec
	s_or_b64 s[0:1], s[0:1], s[10:11]
.LBB22_15:                              ;   in Loop: Header=BB22_4 Depth=1
	s_and_saveexec_b64 s[10:11], s[0:1]
	s_cbranch_execz .LBB22_3
; %bb.16:                               ;   in Loop: Header=BB22_4 Depth=1
	global_load_dwordx2 v[12:13], v[5:6], off
	v_add_co_u32_e32 v14, vcc, 1, v9
	v_lshlrev_b64 v[16:17], 3, v[9:10]
	v_addc_co_u32_e32 v15, vcc, 0, v10, vcc
	v_mov_b32_e32 v18, s7
	v_lshlrev_b64 v[9:10], 2, v[9:10]
	v_add_co_u32_e32 v16, vcc, s6, v16
	v_addc_co_u32_e32 v17, vcc, v18, v17, vcc
	v_mov_b32_e32 v19, s3
	v_add_co_u32_e32 v9, vcc, s2, v9
	v_add_u32_e32 v11, s16, v11
	v_addc_co_u32_e32 v10, vcc, v19, v10, vcc
	global_store_dword v[9:10], v11, off
	s_waitcnt vmcnt(1)
	global_store_dwordx2 v[16:17], v[12:13], off
	v_mov_b32_e32 v9, v14
	v_mov_b32_e32 v10, v15
	s_branch .LBB22_3
.LBB22_17:
	s_endpgm
	.section	.rodata,"a",@progbits
	.p2align	6, 0x0
	.amdhsa_kernel _ZN9rocsparseL28internal_extract_fill_kernelILj1024EdliEEvT2_PKT1_PKS1_PKT0_21rocsparse_index_base_b20rocsparse_diag_type_S4_PS1_PS7_SA_
		.amdhsa_group_segment_fixed_size 0
		.amdhsa_private_segment_fixed_size 0
		.amdhsa_kernarg_size 336
		.amdhsa_user_sgpr_count 6
		.amdhsa_user_sgpr_private_segment_buffer 1
		.amdhsa_user_sgpr_dispatch_ptr 0
		.amdhsa_user_sgpr_queue_ptr 0
		.amdhsa_user_sgpr_kernarg_segment_ptr 1
		.amdhsa_user_sgpr_dispatch_id 0
		.amdhsa_user_sgpr_flat_scratch_init 0
		.amdhsa_user_sgpr_private_segment_size 0
		.amdhsa_uses_dynamic_stack 0
		.amdhsa_system_sgpr_private_segment_wavefront_offset 0
		.amdhsa_system_sgpr_workgroup_id_x 1
		.amdhsa_system_sgpr_workgroup_id_y 0
		.amdhsa_system_sgpr_workgroup_id_z 0
		.amdhsa_system_sgpr_workgroup_info 0
		.amdhsa_system_vgpr_workitem_id 0
		.amdhsa_next_free_vgpr 20
		.amdhsa_next_free_sgpr 20
		.amdhsa_reserve_vcc 1
		.amdhsa_reserve_flat_scratch 0
		.amdhsa_float_round_mode_32 0
		.amdhsa_float_round_mode_16_64 0
		.amdhsa_float_denorm_mode_32 3
		.amdhsa_float_denorm_mode_16_64 3
		.amdhsa_dx10_clamp 1
		.amdhsa_ieee_mode 1
		.amdhsa_fp16_overflow 0
		.amdhsa_exception_fp_ieee_invalid_op 0
		.amdhsa_exception_fp_denorm_src 0
		.amdhsa_exception_fp_ieee_div_zero 0
		.amdhsa_exception_fp_ieee_overflow 0
		.amdhsa_exception_fp_ieee_underflow 0
		.amdhsa_exception_fp_ieee_inexact 0
		.amdhsa_exception_int_div_zero 0
	.end_amdhsa_kernel
	.section	.text._ZN9rocsparseL28internal_extract_fill_kernelILj1024EdliEEvT2_PKT1_PKS1_PKT0_21rocsparse_index_base_b20rocsparse_diag_type_S4_PS1_PS7_SA_,"axG",@progbits,_ZN9rocsparseL28internal_extract_fill_kernelILj1024EdliEEvT2_PKT1_PKS1_PKT0_21rocsparse_index_base_b20rocsparse_diag_type_S4_PS1_PS7_SA_,comdat
.Lfunc_end22:
	.size	_ZN9rocsparseL28internal_extract_fill_kernelILj1024EdliEEvT2_PKT1_PKS1_PKT0_21rocsparse_index_base_b20rocsparse_diag_type_S4_PS1_PS7_SA_, .Lfunc_end22-_ZN9rocsparseL28internal_extract_fill_kernelILj1024EdliEEvT2_PKT1_PKS1_PKT0_21rocsparse_index_base_b20rocsparse_diag_type_S4_PS1_PS7_SA_
                                        ; -- End function
	.set _ZN9rocsparseL28internal_extract_fill_kernelILj1024EdliEEvT2_PKT1_PKS1_PKT0_21rocsparse_index_base_b20rocsparse_diag_type_S4_PS1_PS7_SA_.num_vgpr, 20
	.set _ZN9rocsparseL28internal_extract_fill_kernelILj1024EdliEEvT2_PKT1_PKS1_PKT0_21rocsparse_index_base_b20rocsparse_diag_type_S4_PS1_PS7_SA_.num_agpr, 0
	.set _ZN9rocsparseL28internal_extract_fill_kernelILj1024EdliEEvT2_PKT1_PKS1_PKT0_21rocsparse_index_base_b20rocsparse_diag_type_S4_PS1_PS7_SA_.numbered_sgpr, 20
	.set _ZN9rocsparseL28internal_extract_fill_kernelILj1024EdliEEvT2_PKT1_PKS1_PKT0_21rocsparse_index_base_b20rocsparse_diag_type_S4_PS1_PS7_SA_.num_named_barrier, 0
	.set _ZN9rocsparseL28internal_extract_fill_kernelILj1024EdliEEvT2_PKT1_PKS1_PKT0_21rocsparse_index_base_b20rocsparse_diag_type_S4_PS1_PS7_SA_.private_seg_size, 0
	.set _ZN9rocsparseL28internal_extract_fill_kernelILj1024EdliEEvT2_PKT1_PKS1_PKT0_21rocsparse_index_base_b20rocsparse_diag_type_S4_PS1_PS7_SA_.uses_vcc, 1
	.set _ZN9rocsparseL28internal_extract_fill_kernelILj1024EdliEEvT2_PKT1_PKS1_PKT0_21rocsparse_index_base_b20rocsparse_diag_type_S4_PS1_PS7_SA_.uses_flat_scratch, 0
	.set _ZN9rocsparseL28internal_extract_fill_kernelILj1024EdliEEvT2_PKT1_PKS1_PKT0_21rocsparse_index_base_b20rocsparse_diag_type_S4_PS1_PS7_SA_.has_dyn_sized_stack, 0
	.set _ZN9rocsparseL28internal_extract_fill_kernelILj1024EdliEEvT2_PKT1_PKS1_PKT0_21rocsparse_index_base_b20rocsparse_diag_type_S4_PS1_PS7_SA_.has_recursion, 0
	.set _ZN9rocsparseL28internal_extract_fill_kernelILj1024EdliEEvT2_PKT1_PKS1_PKT0_21rocsparse_index_base_b20rocsparse_diag_type_S4_PS1_PS7_SA_.has_indirect_call, 0
	.section	.AMDGPU.csdata,"",@progbits
; Kernel info:
; codeLenInByte = 596
; TotalNumSgprs: 24
; NumVgprs: 20
; ScratchSize: 0
; MemoryBound: 0
; FloatMode: 240
; IeeeMode: 1
; LDSByteSize: 0 bytes/workgroup (compile time only)
; SGPRBlocks: 2
; VGPRBlocks: 4
; NumSGPRsForWavesPerEU: 24
; NumVGPRsForWavesPerEU: 20
; Occupancy: 10
; WaveLimiterHint : 0
; COMPUTE_PGM_RSRC2:SCRATCH_EN: 0
; COMPUTE_PGM_RSRC2:USER_SGPR: 6
; COMPUTE_PGM_RSRC2:TRAP_HANDLER: 0
; COMPUTE_PGM_RSRC2:TGID_X_EN: 1
; COMPUTE_PGM_RSRC2:TGID_Y_EN: 0
; COMPUTE_PGM_RSRC2:TGID_Z_EN: 0
; COMPUTE_PGM_RSRC2:TIDIG_COMP_CNT: 0
	.section	.text._ZN9rocsparseL28internal_extract_fill_kernelILj1024EdllEEvT2_PKT1_PKS1_PKT0_21rocsparse_index_base_b20rocsparse_diag_type_S4_PS1_PS7_SA_,"axG",@progbits,_ZN9rocsparseL28internal_extract_fill_kernelILj1024EdllEEvT2_PKT1_PKS1_PKT0_21rocsparse_index_base_b20rocsparse_diag_type_S4_PS1_PS7_SA_,comdat
	.globl	_ZN9rocsparseL28internal_extract_fill_kernelILj1024EdllEEvT2_PKT1_PKS1_PKT0_21rocsparse_index_base_b20rocsparse_diag_type_S4_PS1_PS7_SA_ ; -- Begin function _ZN9rocsparseL28internal_extract_fill_kernelILj1024EdllEEvT2_PKT1_PKS1_PKT0_21rocsparse_index_base_b20rocsparse_diag_type_S4_PS1_PS7_SA_
	.p2align	8
	.type	_ZN9rocsparseL28internal_extract_fill_kernelILj1024EdllEEvT2_PKT1_PKS1_PKT0_21rocsparse_index_base_b20rocsparse_diag_type_S4_PS1_PS7_SA_,@function
_ZN9rocsparseL28internal_extract_fill_kernelILj1024EdllEEvT2_PKT1_PKS1_PKT0_21rocsparse_index_base_b20rocsparse_diag_type_S4_PS1_PS7_SA_: ; @_ZN9rocsparseL28internal_extract_fill_kernelILj1024EdllEEvT2_PKT1_PKS1_PKT0_21rocsparse_index_base_b20rocsparse_diag_type_S4_PS1_PS7_SA_
; %bb.0:
	s_load_dword s2, s[4:5], 0x5c
	s_load_dwordx2 s[0:1], s[4:5], 0x0
	v_mov_b32_e32 v5, 0
	s_waitcnt lgkmcnt(0)
	s_and_b32 s2, s2, 0xffff
	s_mul_i32 s6, s6, s2
	v_add_u32_e32 v4, s6, v0
	v_cmp_gt_i64_e32 vcc, s[0:1], v[4:5]
	s_and_saveexec_b64 s[0:1], vcc
	s_cbranch_execz .LBB23_17
; %bb.1:
	s_load_dwordx2 s[0:1], s[4:5], 0x8
	v_lshlrev_b64 v[6:7], 3, v[4:5]
	s_waitcnt lgkmcnt(0)
	v_mov_b32_e32 v1, s1
	v_add_co_u32_e32 v0, vcc, s0, v6
	v_addc_co_u32_e32 v1, vcc, v1, v7, vcc
	global_load_dwordx4 v[0:3], v[0:1], off
	s_waitcnt vmcnt(0)
	v_cmp_lt_i64_e32 vcc, v[0:1], v[2:3]
	s_and_b64 exec, exec, vcc
	s_cbranch_execz .LBB23_17
; %bb.2:
	s_load_dwordx4 s[0:3], s[4:5], 0x30
	s_mov_b64 s[12:13], 0
	s_waitcnt lgkmcnt(0)
	v_mov_b32_e32 v8, s1
	v_add_co_u32_e32 v6, vcc, s0, v6
	v_addc_co_u32_e32 v7, vcc, v8, v7, vcc
	global_load_dwordx2 v[10:11], v[6:7], off
	s_load_dwordx8 s[20:27], s[4:5], 0x10
	s_load_dwordx2 s[6:7], s[4:5], 0x40
	s_load_dword s18, s[4:5], 0x48
	s_mov_b32 s5, 0
	v_lshlrev_b64 v[6:7], 3, v[0:1]
	s_waitcnt lgkmcnt(0)
	s_bitcmp1_b32 s25, 0
	v_subrev_co_u32_e32 v2, vcc, s24, v2
	s_cselect_b64 s[0:1], -1, 0
	v_subbrev_co_u32_e32 v3, vcc, 0, v3, vcc
	s_xor_b64 s[8:9], s[0:1], -1
	s_mov_b32 s4, s24
	v_subrev_co_u32_e32 v0, vcc, s24, v0
	s_cmp_lg_u32 s26, 1
	v_subbrev_co_u32_e32 v1, vcc, 0, v1, vcc
	s_cselect_b64 s[10:11], -1, 0
	s_lshl_b64 s[0:1], s[4:5], 3
	v_mov_b32_e32 v12, s1
	v_subrev_co_u32_e32 v13, vcc, s0, v6
	v_subb_co_u32_e32 v12, vcc, v7, v12, vcc
	v_mov_b32_e32 v8, s23
	v_add_co_u32_e32 v6, vcc, s22, v13
	v_addc_co_u32_e32 v7, vcc, v8, v12, vcc
	v_mov_b32_e32 v9, s21
	v_add_co_u32_e32 v8, vcc, s20, v13
	v_addc_co_u32_e32 v9, vcc, v9, v12, vcc
	s_waitcnt vmcnt(0)
	v_subrev_co_u32_e32 v10, vcc, s18, v10
	v_subbrev_co_u32_e32 v11, vcc, 0, v11, vcc
	s_branch .LBB23_4
.LBB23_3:                               ;   in Loop: Header=BB23_4 Depth=1
	s_or_b64 exec, exec, s[0:1]
	v_add_co_u32_e32 v0, vcc, 1, v0
	v_addc_co_u32_e32 v1, vcc, 0, v1, vcc
	v_cmp_ge_i64_e32 vcc, v[0:1], v[2:3]
	v_add_co_u32_e64 v6, s[0:1], 8, v6
	s_or_b64 s[12:13], vcc, s[12:13]
	v_add_co_u32_e32 v8, vcc, 8, v8
	v_addc_co_u32_e64 v7, s[0:1], 0, v7, s[0:1]
	v_addc_co_u32_e32 v9, vcc, 0, v9, vcc
	s_andn2_b64 exec, exec, s[12:13]
	s_cbranch_execz .LBB23_17
.LBB23_4:                               ; =>This Inner Loop Header: Depth=1
	global_load_dwordx2 v[12:13], v[8:9], off
	s_and_b64 vcc, exec, s[8:9]
	s_mov_b64 s[16:17], -1
                                        ; implicit-def: $sgpr14_sgpr15
	s_waitcnt vmcnt(0)
	v_subrev_co_u32_e64 v12, s[0:1], s4, v12
	v_subbrev_co_u32_e64 v13, s[0:1], 0, v13, s[0:1]
	s_cbranch_vccz .LBB23_10
; %bb.5:                                ;   in Loop: Header=BB23_4 Depth=1
	s_mov_b64 s[0:1], -1
	s_and_b64 vcc, exec, s[10:11]
                                        ; implicit-def: $sgpr14_sgpr15
	s_cbranch_vccz .LBB23_7
; %bb.6:                                ;   in Loop: Header=BB23_4 Depth=1
	v_cmp_ge_i64_e64 s[14:15], v[12:13], v[4:5]
	s_mov_b64 s[0:1], 0
.LBB23_7:                               ;   in Loop: Header=BB23_4 Depth=1
	s_andn2_b64 vcc, exec, s[0:1]
	s_cbranch_vccnz .LBB23_9
; %bb.8:                                ;   in Loop: Header=BB23_4 Depth=1
	v_cmp_gt_i64_e32 vcc, v[12:13], v[4:5]
	s_andn2_b64 s[0:1], s[14:15], exec
	s_and_b64 s[14:15], vcc, exec
	s_or_b64 s[14:15], s[0:1], s[14:15]
.LBB23_9:                               ;   in Loop: Header=BB23_4 Depth=1
	s_mov_b64 s[16:17], 0
.LBB23_10:                              ;   in Loop: Header=BB23_4 Depth=1
	s_andn2_b64 vcc, exec, s[16:17]
	s_cbranch_vccnz .LBB23_15
; %bb.11:                               ;   in Loop: Header=BB23_4 Depth=1
	s_mov_b64 s[0:1], -1
	s_and_b64 vcc, exec, s[10:11]
                                        ; implicit-def: $sgpr14_sgpr15
	s_cbranch_vccz .LBB23_13
; %bb.12:                               ;   in Loop: Header=BB23_4 Depth=1
	v_cmp_le_i64_e64 s[14:15], v[12:13], v[4:5]
	s_mov_b64 s[0:1], 0
.LBB23_13:                              ;   in Loop: Header=BB23_4 Depth=1
	s_andn2_b64 vcc, exec, s[0:1]
	s_cbranch_vccnz .LBB23_15
; %bb.14:                               ;   in Loop: Header=BB23_4 Depth=1
	v_cmp_lt_i64_e32 vcc, v[12:13], v[4:5]
	s_andn2_b64 s[0:1], s[14:15], exec
	s_and_b64 s[14:15], vcc, exec
	s_or_b64 s[14:15], s[0:1], s[14:15]
.LBB23_15:                              ;   in Loop: Header=BB23_4 Depth=1
	s_and_saveexec_b64 s[0:1], s[14:15]
	s_cbranch_execz .LBB23_3
; %bb.16:                               ;   in Loop: Header=BB23_4 Depth=1
	global_load_dwordx2 v[14:15], v[6:7], off
	v_add_co_u32_e32 v16, vcc, 1, v10
	v_addc_co_u32_e32 v17, vcc, 0, v11, vcc
	v_lshlrev_b64 v[10:11], 3, v[10:11]
	v_add_co_u32_e32 v12, vcc, s18, v12
	v_addc_co_u32_e32 v13, vcc, 0, v13, vcc
	v_mov_b32_e32 v19, s7
	v_add_co_u32_e32 v18, vcc, s6, v10
	v_addc_co_u32_e32 v19, vcc, v19, v11, vcc
	v_mov_b32_e32 v20, s3
	v_add_co_u32_e32 v10, vcc, s2, v10
	v_addc_co_u32_e32 v11, vcc, v20, v11, vcc
	global_store_dwordx2 v[10:11], v[12:13], off
	s_waitcnt vmcnt(1)
	global_store_dwordx2 v[18:19], v[14:15], off
	v_mov_b32_e32 v10, v16
	v_mov_b32_e32 v11, v17
	s_branch .LBB23_3
.LBB23_17:
	s_endpgm
	.section	.rodata,"a",@progbits
	.p2align	6, 0x0
	.amdhsa_kernel _ZN9rocsparseL28internal_extract_fill_kernelILj1024EdllEEvT2_PKT1_PKS1_PKT0_21rocsparse_index_base_b20rocsparse_diag_type_S4_PS1_PS7_SA_
		.amdhsa_group_segment_fixed_size 0
		.amdhsa_private_segment_fixed_size 0
		.amdhsa_kernarg_size 336
		.amdhsa_user_sgpr_count 6
		.amdhsa_user_sgpr_private_segment_buffer 1
		.amdhsa_user_sgpr_dispatch_ptr 0
		.amdhsa_user_sgpr_queue_ptr 0
		.amdhsa_user_sgpr_kernarg_segment_ptr 1
		.amdhsa_user_sgpr_dispatch_id 0
		.amdhsa_user_sgpr_flat_scratch_init 0
		.amdhsa_user_sgpr_private_segment_size 0
		.amdhsa_uses_dynamic_stack 0
		.amdhsa_system_sgpr_private_segment_wavefront_offset 0
		.amdhsa_system_sgpr_workgroup_id_x 1
		.amdhsa_system_sgpr_workgroup_id_y 0
		.amdhsa_system_sgpr_workgroup_id_z 0
		.amdhsa_system_sgpr_workgroup_info 0
		.amdhsa_system_vgpr_workitem_id 0
		.amdhsa_next_free_vgpr 21
		.amdhsa_next_free_sgpr 28
		.amdhsa_reserve_vcc 1
		.amdhsa_reserve_flat_scratch 0
		.amdhsa_float_round_mode_32 0
		.amdhsa_float_round_mode_16_64 0
		.amdhsa_float_denorm_mode_32 3
		.amdhsa_float_denorm_mode_16_64 3
		.amdhsa_dx10_clamp 1
		.amdhsa_ieee_mode 1
		.amdhsa_fp16_overflow 0
		.amdhsa_exception_fp_ieee_invalid_op 0
		.amdhsa_exception_fp_denorm_src 0
		.amdhsa_exception_fp_ieee_div_zero 0
		.amdhsa_exception_fp_ieee_overflow 0
		.amdhsa_exception_fp_ieee_underflow 0
		.amdhsa_exception_fp_ieee_inexact 0
		.amdhsa_exception_int_div_zero 0
	.end_amdhsa_kernel
	.section	.text._ZN9rocsparseL28internal_extract_fill_kernelILj1024EdllEEvT2_PKT1_PKS1_PKT0_21rocsparse_index_base_b20rocsparse_diag_type_S4_PS1_PS7_SA_,"axG",@progbits,_ZN9rocsparseL28internal_extract_fill_kernelILj1024EdllEEvT2_PKT1_PKS1_PKT0_21rocsparse_index_base_b20rocsparse_diag_type_S4_PS1_PS7_SA_,comdat
.Lfunc_end23:
	.size	_ZN9rocsparseL28internal_extract_fill_kernelILj1024EdllEEvT2_PKT1_PKS1_PKT0_21rocsparse_index_base_b20rocsparse_diag_type_S4_PS1_PS7_SA_, .Lfunc_end23-_ZN9rocsparseL28internal_extract_fill_kernelILj1024EdllEEvT2_PKT1_PKS1_PKT0_21rocsparse_index_base_b20rocsparse_diag_type_S4_PS1_PS7_SA_
                                        ; -- End function
	.set _ZN9rocsparseL28internal_extract_fill_kernelILj1024EdllEEvT2_PKT1_PKS1_PKT0_21rocsparse_index_base_b20rocsparse_diag_type_S4_PS1_PS7_SA_.num_vgpr, 21
	.set _ZN9rocsparseL28internal_extract_fill_kernelILj1024EdllEEvT2_PKT1_PKS1_PKT0_21rocsparse_index_base_b20rocsparse_diag_type_S4_PS1_PS7_SA_.num_agpr, 0
	.set _ZN9rocsparseL28internal_extract_fill_kernelILj1024EdllEEvT2_PKT1_PKS1_PKT0_21rocsparse_index_base_b20rocsparse_diag_type_S4_PS1_PS7_SA_.numbered_sgpr, 28
	.set _ZN9rocsparseL28internal_extract_fill_kernelILj1024EdllEEvT2_PKT1_PKS1_PKT0_21rocsparse_index_base_b20rocsparse_diag_type_S4_PS1_PS7_SA_.num_named_barrier, 0
	.set _ZN9rocsparseL28internal_extract_fill_kernelILj1024EdllEEvT2_PKT1_PKS1_PKT0_21rocsparse_index_base_b20rocsparse_diag_type_S4_PS1_PS7_SA_.private_seg_size, 0
	.set _ZN9rocsparseL28internal_extract_fill_kernelILj1024EdllEEvT2_PKT1_PKS1_PKT0_21rocsparse_index_base_b20rocsparse_diag_type_S4_PS1_PS7_SA_.uses_vcc, 1
	.set _ZN9rocsparseL28internal_extract_fill_kernelILj1024EdllEEvT2_PKT1_PKS1_PKT0_21rocsparse_index_base_b20rocsparse_diag_type_S4_PS1_PS7_SA_.uses_flat_scratch, 0
	.set _ZN9rocsparseL28internal_extract_fill_kernelILj1024EdllEEvT2_PKT1_PKS1_PKT0_21rocsparse_index_base_b20rocsparse_diag_type_S4_PS1_PS7_SA_.has_dyn_sized_stack, 0
	.set _ZN9rocsparseL28internal_extract_fill_kernelILj1024EdllEEvT2_PKT1_PKS1_PKT0_21rocsparse_index_base_b20rocsparse_diag_type_S4_PS1_PS7_SA_.has_recursion, 0
	.set _ZN9rocsparseL28internal_extract_fill_kernelILj1024EdllEEvT2_PKT1_PKS1_PKT0_21rocsparse_index_base_b20rocsparse_diag_type_S4_PS1_PS7_SA_.has_indirect_call, 0
	.section	.AMDGPU.csdata,"",@progbits
; Kernel info:
; codeLenInByte = 580
; TotalNumSgprs: 32
; NumVgprs: 21
; ScratchSize: 0
; MemoryBound: 0
; FloatMode: 240
; IeeeMode: 1
; LDSByteSize: 0 bytes/workgroup (compile time only)
; SGPRBlocks: 3
; VGPRBlocks: 5
; NumSGPRsForWavesPerEU: 32
; NumVGPRsForWavesPerEU: 21
; Occupancy: 10
; WaveLimiterHint : 0
; COMPUTE_PGM_RSRC2:SCRATCH_EN: 0
; COMPUTE_PGM_RSRC2:USER_SGPR: 6
; COMPUTE_PGM_RSRC2:TRAP_HANDLER: 0
; COMPUTE_PGM_RSRC2:TGID_X_EN: 1
; COMPUTE_PGM_RSRC2:TGID_Y_EN: 0
; COMPUTE_PGM_RSRC2:TGID_Z_EN: 0
; COMPUTE_PGM_RSRC2:TIDIG_COMP_CNT: 0
	.section	.text._ZN9rocsparseL28internal_extract_fill_kernelILj1024E21rocsparse_complex_numIfEiiEEvT2_PKT1_PKS3_PKT0_21rocsparse_index_base_b20rocsparse_diag_type_S6_PS3_PS9_SC_,"axG",@progbits,_ZN9rocsparseL28internal_extract_fill_kernelILj1024E21rocsparse_complex_numIfEiiEEvT2_PKT1_PKS3_PKT0_21rocsparse_index_base_b20rocsparse_diag_type_S6_PS3_PS9_SC_,comdat
	.globl	_ZN9rocsparseL28internal_extract_fill_kernelILj1024E21rocsparse_complex_numIfEiiEEvT2_PKT1_PKS3_PKT0_21rocsparse_index_base_b20rocsparse_diag_type_S6_PS3_PS9_SC_ ; -- Begin function _ZN9rocsparseL28internal_extract_fill_kernelILj1024E21rocsparse_complex_numIfEiiEEvT2_PKT1_PKS3_PKT0_21rocsparse_index_base_b20rocsparse_diag_type_S6_PS3_PS9_SC_
	.p2align	8
	.type	_ZN9rocsparseL28internal_extract_fill_kernelILj1024E21rocsparse_complex_numIfEiiEEvT2_PKT1_PKS3_PKT0_21rocsparse_index_base_b20rocsparse_diag_type_S6_PS3_PS9_SC_,@function
_ZN9rocsparseL28internal_extract_fill_kernelILj1024E21rocsparse_complex_numIfEiiEEvT2_PKT1_PKS3_PKT0_21rocsparse_index_base_b20rocsparse_diag_type_S6_PS3_PS9_SC_: ; @_ZN9rocsparseL28internal_extract_fill_kernelILj1024E21rocsparse_complex_numIfEiiEEvT2_PKT1_PKS3_PKT0_21rocsparse_index_base_b20rocsparse_diag_type_S6_PS3_PS9_SC_
; %bb.0:
	s_load_dword s0, s[4:5], 0x5c
	s_load_dword s1, s[4:5], 0x0
	s_waitcnt lgkmcnt(0)
	s_and_b32 s0, s0, 0xffff
	s_mul_i32 s6, s6, s0
	v_add_u32_e32 v0, s6, v0
	v_cmp_gt_i32_e32 vcc, s1, v0
	s_and_saveexec_b64 s[0:1], vcc
	s_cbranch_execz .LBB24_17
; %bb.1:
	s_load_dwordx2 s[0:1], s[4:5], 0x8
	v_ashrrev_i32_e32 v1, 31, v0
	v_lshlrev_b64 v[3:4], 2, v[0:1]
	s_waitcnt lgkmcnt(0)
	v_mov_b32_e32 v2, s1
	v_add_co_u32_e32 v1, vcc, s0, v3
	v_addc_co_u32_e32 v2, vcc, v2, v4, vcc
	global_load_dwordx2 v[1:2], v[1:2], off
	s_waitcnt vmcnt(0)
	v_cmp_lt_i32_e32 vcc, v1, v2
	s_and_b64 exec, exec, vcc
	s_cbranch_execz .LBB24_17
; %bb.2:
	s_load_dwordx4 s[0:3], s[4:5], 0x30
	s_waitcnt lgkmcnt(0)
	v_mov_b32_e32 v5, s1
	v_add_co_u32_e32 v3, vcc, s0, v3
	v_addc_co_u32_e32 v4, vcc, v5, v4, vcc
	global_load_dword v7, v[3:4], off
	s_load_dwordx8 s[8:15], s[4:5], 0x10
	s_load_dwordx2 s[0:1], s[4:5], 0x40
	s_load_dword s16, s[4:5], 0x48
	s_waitcnt lgkmcnt(0)
	v_subrev_u32_e32 v1, s12, v1
	v_subrev_u32_e32 v8, s12, v2
	v_ashrrev_i32_e32 v2, 31, v1
	v_lshlrev_b64 v[3:4], 2, v[1:2]
	s_bitcmp1_b32 s13, 0
	v_mov_b32_e32 v9, s9
	s_cselect_b64 s[4:5], -1, 0
	v_lshlrev_b64 v[5:6], 3, v[1:2]
	v_add_co_u32_e32 v2, vcc, s8, v3
	s_xor_b64 s[4:5], s[4:5], -1
	v_addc_co_u32_e32 v3, vcc, v9, v4, vcc
	v_mov_b32_e32 v10, s11
	s_cmp_lg_u32 s14, 1
	v_add_co_u32_e32 v4, vcc, s10, v5
	s_cselect_b64 s[6:7], -1, 0
	v_addc_co_u32_e32 v5, vcc, v10, v6, vcc
	s_mov_b64 s[8:9], 0
	s_waitcnt vmcnt(0)
	v_subrev_u32_e32 v6, s16, v7
	s_branch .LBB24_4
.LBB24_3:                               ;   in Loop: Header=BB24_4 Depth=1
	s_or_b64 exec, exec, s[14:15]
	v_add_co_u32_e32 v2, vcc, 4, v2
	v_add_u32_e32 v1, 1, v1
	v_addc_co_u32_e32 v3, vcc, 0, v3, vcc
	v_cmp_ge_i32_e32 vcc, v1, v8
	s_or_b64 s[8:9], vcc, s[8:9]
	v_add_co_u32_e32 v4, vcc, 8, v4
	v_addc_co_u32_e32 v5, vcc, 0, v5, vcc
	s_andn2_b64 exec, exec, s[8:9]
	s_cbranch_execz .LBB24_17
.LBB24_4:                               ; =>This Inner Loop Header: Depth=1
	global_load_dword v7, v[2:3], off
	s_and_b64 vcc, exec, s[4:5]
	s_mov_b64 s[14:15], -1
                                        ; implicit-def: $sgpr10_sgpr11
	s_waitcnt vmcnt(0)
	v_subrev_u32_e32 v9, s12, v7
	s_cbranch_vccz .LBB24_10
; %bb.5:                                ;   in Loop: Header=BB24_4 Depth=1
	s_and_b64 vcc, exec, s[6:7]
                                        ; implicit-def: $sgpr10_sgpr11
	s_cbranch_vccz .LBB24_7
; %bb.6:                                ;   in Loop: Header=BB24_4 Depth=1
	v_cmp_le_i32_e64 s[10:11], v0, v9
	s_mov_b64 s[14:15], 0
.LBB24_7:                               ;   in Loop: Header=BB24_4 Depth=1
	s_andn2_b64 vcc, exec, s[14:15]
	s_cbranch_vccnz .LBB24_9
; %bb.8:                                ;   in Loop: Header=BB24_4 Depth=1
	v_cmp_lt_i32_e32 vcc, v0, v9
	s_andn2_b64 s[10:11], s[10:11], exec
	s_and_b64 s[14:15], vcc, exec
	s_or_b64 s[10:11], s[10:11], s[14:15]
.LBB24_9:                               ;   in Loop: Header=BB24_4 Depth=1
	s_mov_b64 s[14:15], 0
.LBB24_10:                              ;   in Loop: Header=BB24_4 Depth=1
	s_andn2_b64 vcc, exec, s[14:15]
	s_cbranch_vccnz .LBB24_15
; %bb.11:                               ;   in Loop: Header=BB24_4 Depth=1
	s_mov_b64 s[14:15], -1
	s_and_b64 vcc, exec, s[6:7]
                                        ; implicit-def: $sgpr10_sgpr11
	s_cbranch_vccz .LBB24_13
; %bb.12:                               ;   in Loop: Header=BB24_4 Depth=1
	v_cmp_ge_i32_e64 s[10:11], v0, v9
	s_mov_b64 s[14:15], 0
.LBB24_13:                              ;   in Loop: Header=BB24_4 Depth=1
	s_andn2_b64 vcc, exec, s[14:15]
	s_cbranch_vccnz .LBB24_15
; %bb.14:                               ;   in Loop: Header=BB24_4 Depth=1
	v_cmp_gt_i32_e32 vcc, v0, v9
	s_andn2_b64 s[10:11], s[10:11], exec
	s_and_b64 s[14:15], vcc, exec
	s_or_b64 s[10:11], s[10:11], s[14:15]
.LBB24_15:                              ;   in Loop: Header=BB24_4 Depth=1
	s_and_saveexec_b64 s[14:15], s[10:11]
	s_cbranch_execz .LBB24_3
; %bb.16:                               ;   in Loop: Header=BB24_4 Depth=1
	global_load_dwordx2 v[10:11], v[4:5], off
	v_ashrrev_i32_e32 v7, 31, v6
	v_lshlrev_b64 v[12:13], 3, v[6:7]
	v_add_u32_e32 v14, 1, v6
	v_mov_b32_e32 v15, s1
	v_lshlrev_b64 v[6:7], 2, v[6:7]
	v_add_co_u32_e32 v12, vcc, s0, v12
	v_addc_co_u32_e32 v13, vcc, v15, v13, vcc
	v_mov_b32_e32 v16, s3
	v_add_co_u32_e32 v6, vcc, s2, v6
	v_add_u32_e32 v9, s16, v9
	v_addc_co_u32_e32 v7, vcc, v16, v7, vcc
	global_store_dword v[6:7], v9, off
	s_waitcnt vmcnt(1)
	global_store_dwordx2 v[12:13], v[10:11], off
	v_mov_b32_e32 v6, v14
	s_branch .LBB24_3
.LBB24_17:
	s_endpgm
	.section	.rodata,"a",@progbits
	.p2align	6, 0x0
	.amdhsa_kernel _ZN9rocsparseL28internal_extract_fill_kernelILj1024E21rocsparse_complex_numIfEiiEEvT2_PKT1_PKS3_PKT0_21rocsparse_index_base_b20rocsparse_diag_type_S6_PS3_PS9_SC_
		.amdhsa_group_segment_fixed_size 0
		.amdhsa_private_segment_fixed_size 0
		.amdhsa_kernarg_size 336
		.amdhsa_user_sgpr_count 6
		.amdhsa_user_sgpr_private_segment_buffer 1
		.amdhsa_user_sgpr_dispatch_ptr 0
		.amdhsa_user_sgpr_queue_ptr 0
		.amdhsa_user_sgpr_kernarg_segment_ptr 1
		.amdhsa_user_sgpr_dispatch_id 0
		.amdhsa_user_sgpr_flat_scratch_init 0
		.amdhsa_user_sgpr_private_segment_size 0
		.amdhsa_uses_dynamic_stack 0
		.amdhsa_system_sgpr_private_segment_wavefront_offset 0
		.amdhsa_system_sgpr_workgroup_id_x 1
		.amdhsa_system_sgpr_workgroup_id_y 0
		.amdhsa_system_sgpr_workgroup_id_z 0
		.amdhsa_system_sgpr_workgroup_info 0
		.amdhsa_system_vgpr_workitem_id 0
		.amdhsa_next_free_vgpr 17
		.amdhsa_next_free_sgpr 17
		.amdhsa_reserve_vcc 1
		.amdhsa_reserve_flat_scratch 0
		.amdhsa_float_round_mode_32 0
		.amdhsa_float_round_mode_16_64 0
		.amdhsa_float_denorm_mode_32 3
		.amdhsa_float_denorm_mode_16_64 3
		.amdhsa_dx10_clamp 1
		.amdhsa_ieee_mode 1
		.amdhsa_fp16_overflow 0
		.amdhsa_exception_fp_ieee_invalid_op 0
		.amdhsa_exception_fp_denorm_src 0
		.amdhsa_exception_fp_ieee_div_zero 0
		.amdhsa_exception_fp_ieee_overflow 0
		.amdhsa_exception_fp_ieee_underflow 0
		.amdhsa_exception_fp_ieee_inexact 0
		.amdhsa_exception_int_div_zero 0
	.end_amdhsa_kernel
	.section	.text._ZN9rocsparseL28internal_extract_fill_kernelILj1024E21rocsparse_complex_numIfEiiEEvT2_PKT1_PKS3_PKT0_21rocsparse_index_base_b20rocsparse_diag_type_S6_PS3_PS9_SC_,"axG",@progbits,_ZN9rocsparseL28internal_extract_fill_kernelILj1024E21rocsparse_complex_numIfEiiEEvT2_PKT1_PKS3_PKT0_21rocsparse_index_base_b20rocsparse_diag_type_S6_PS3_PS9_SC_,comdat
.Lfunc_end24:
	.size	_ZN9rocsparseL28internal_extract_fill_kernelILj1024E21rocsparse_complex_numIfEiiEEvT2_PKT1_PKS3_PKT0_21rocsparse_index_base_b20rocsparse_diag_type_S6_PS3_PS9_SC_, .Lfunc_end24-_ZN9rocsparseL28internal_extract_fill_kernelILj1024E21rocsparse_complex_numIfEiiEEvT2_PKT1_PKS3_PKT0_21rocsparse_index_base_b20rocsparse_diag_type_S6_PS3_PS9_SC_
                                        ; -- End function
	.set _ZN9rocsparseL28internal_extract_fill_kernelILj1024E21rocsparse_complex_numIfEiiEEvT2_PKT1_PKS3_PKT0_21rocsparse_index_base_b20rocsparse_diag_type_S6_PS3_PS9_SC_.num_vgpr, 17
	.set _ZN9rocsparseL28internal_extract_fill_kernelILj1024E21rocsparse_complex_numIfEiiEEvT2_PKT1_PKS3_PKT0_21rocsparse_index_base_b20rocsparse_diag_type_S6_PS3_PS9_SC_.num_agpr, 0
	.set _ZN9rocsparseL28internal_extract_fill_kernelILj1024E21rocsparse_complex_numIfEiiEEvT2_PKT1_PKS3_PKT0_21rocsparse_index_base_b20rocsparse_diag_type_S6_PS3_PS9_SC_.numbered_sgpr, 17
	.set _ZN9rocsparseL28internal_extract_fill_kernelILj1024E21rocsparse_complex_numIfEiiEEvT2_PKT1_PKS3_PKT0_21rocsparse_index_base_b20rocsparse_diag_type_S6_PS3_PS9_SC_.num_named_barrier, 0
	.set _ZN9rocsparseL28internal_extract_fill_kernelILj1024E21rocsparse_complex_numIfEiiEEvT2_PKT1_PKS3_PKT0_21rocsparse_index_base_b20rocsparse_diag_type_S6_PS3_PS9_SC_.private_seg_size, 0
	.set _ZN9rocsparseL28internal_extract_fill_kernelILj1024E21rocsparse_complex_numIfEiiEEvT2_PKT1_PKS3_PKT0_21rocsparse_index_base_b20rocsparse_diag_type_S6_PS3_PS9_SC_.uses_vcc, 1
	.set _ZN9rocsparseL28internal_extract_fill_kernelILj1024E21rocsparse_complex_numIfEiiEEvT2_PKT1_PKS3_PKT0_21rocsparse_index_base_b20rocsparse_diag_type_S6_PS3_PS9_SC_.uses_flat_scratch, 0
	.set _ZN9rocsparseL28internal_extract_fill_kernelILj1024E21rocsparse_complex_numIfEiiEEvT2_PKT1_PKS3_PKT0_21rocsparse_index_base_b20rocsparse_diag_type_S6_PS3_PS9_SC_.has_dyn_sized_stack, 0
	.set _ZN9rocsparseL28internal_extract_fill_kernelILj1024E21rocsparse_complex_numIfEiiEEvT2_PKT1_PKS3_PKT0_21rocsparse_index_base_b20rocsparse_diag_type_S6_PS3_PS9_SC_.has_recursion, 0
	.set _ZN9rocsparseL28internal_extract_fill_kernelILj1024E21rocsparse_complex_numIfEiiEEvT2_PKT1_PKS3_PKT0_21rocsparse_index_base_b20rocsparse_diag_type_S6_PS3_PS9_SC_.has_indirect_call, 0
	.section	.AMDGPU.csdata,"",@progbits
; Kernel info:
; codeLenInByte = 528
; TotalNumSgprs: 21
; NumVgprs: 17
; ScratchSize: 0
; MemoryBound: 0
; FloatMode: 240
; IeeeMode: 1
; LDSByteSize: 0 bytes/workgroup (compile time only)
; SGPRBlocks: 2
; VGPRBlocks: 4
; NumSGPRsForWavesPerEU: 21
; NumVGPRsForWavesPerEU: 17
; Occupancy: 10
; WaveLimiterHint : 0
; COMPUTE_PGM_RSRC2:SCRATCH_EN: 0
; COMPUTE_PGM_RSRC2:USER_SGPR: 6
; COMPUTE_PGM_RSRC2:TRAP_HANDLER: 0
; COMPUTE_PGM_RSRC2:TGID_X_EN: 1
; COMPUTE_PGM_RSRC2:TGID_Y_EN: 0
; COMPUTE_PGM_RSRC2:TGID_Z_EN: 0
; COMPUTE_PGM_RSRC2:TIDIG_COMP_CNT: 0
	.section	.text._ZN9rocsparseL28internal_extract_fill_kernelILj1024E21rocsparse_complex_numIfEilEEvT2_PKT1_PKS3_PKT0_21rocsparse_index_base_b20rocsparse_diag_type_S6_PS3_PS9_SC_,"axG",@progbits,_ZN9rocsparseL28internal_extract_fill_kernelILj1024E21rocsparse_complex_numIfEilEEvT2_PKT1_PKS3_PKT0_21rocsparse_index_base_b20rocsparse_diag_type_S6_PS3_PS9_SC_,comdat
	.globl	_ZN9rocsparseL28internal_extract_fill_kernelILj1024E21rocsparse_complex_numIfEilEEvT2_PKT1_PKS3_PKT0_21rocsparse_index_base_b20rocsparse_diag_type_S6_PS3_PS9_SC_ ; -- Begin function _ZN9rocsparseL28internal_extract_fill_kernelILj1024E21rocsparse_complex_numIfEilEEvT2_PKT1_PKS3_PKT0_21rocsparse_index_base_b20rocsparse_diag_type_S6_PS3_PS9_SC_
	.p2align	8
	.type	_ZN9rocsparseL28internal_extract_fill_kernelILj1024E21rocsparse_complex_numIfEilEEvT2_PKT1_PKS3_PKT0_21rocsparse_index_base_b20rocsparse_diag_type_S6_PS3_PS9_SC_,@function
_ZN9rocsparseL28internal_extract_fill_kernelILj1024E21rocsparse_complex_numIfEilEEvT2_PKT1_PKS3_PKT0_21rocsparse_index_base_b20rocsparse_diag_type_S6_PS3_PS9_SC_: ; @_ZN9rocsparseL28internal_extract_fill_kernelILj1024E21rocsparse_complex_numIfEilEEvT2_PKT1_PKS3_PKT0_21rocsparse_index_base_b20rocsparse_diag_type_S6_PS3_PS9_SC_
; %bb.0:
	s_load_dword s2, s[4:5], 0x5c
	s_load_dwordx2 s[0:1], s[4:5], 0x0
	s_waitcnt lgkmcnt(0)
	s_and_b32 s2, s2, 0xffff
	s_mul_i32 s6, s6, s2
	v_add_u32_e32 v0, s6, v0
	v_ashrrev_i32_e32 v1, 31, v0
	v_cmp_gt_i64_e32 vcc, s[0:1], v[0:1]
	s_and_saveexec_b64 s[0:1], vcc
	s_cbranch_execz .LBB25_17
; %bb.1:
	s_load_dwordx2 s[0:1], s[4:5], 0x8
	v_lshlrev_b64 v[4:5], 2, v[0:1]
	s_waitcnt lgkmcnt(0)
	v_mov_b32_e32 v3, s1
	v_add_co_u32_e32 v2, vcc, s0, v4
	v_addc_co_u32_e32 v3, vcc, v3, v5, vcc
	global_load_dwordx2 v[2:3], v[2:3], off
	s_waitcnt vmcnt(0)
	v_cmp_lt_i32_e32 vcc, v2, v3
	s_and_b64 exec, exec, vcc
	s_cbranch_execz .LBB25_17
; %bb.2:
	s_load_dwordx4 s[0:3], s[4:5], 0x30
	s_waitcnt lgkmcnt(0)
	v_mov_b32_e32 v6, s1
	v_add_co_u32_e32 v4, vcc, s0, v4
	v_addc_co_u32_e32 v5, vcc, v6, v5, vcc
	global_load_dword v7, v[4:5], off
	s_load_dwordx8 s[8:15], s[4:5], 0x10
	s_load_dwordx2 s[6:7], s[4:5], 0x40
	s_load_dword s18, s[4:5], 0x48
	s_waitcnt lgkmcnt(0)
	v_subrev_u32_e32 v2, s12, v2
	v_subrev_u32_e32 v11, s12, v3
	v_ashrrev_i32_e32 v3, 31, v2
	v_lshlrev_b64 v[5:6], 3, v[2:3]
	s_bitcmp1_b32 s13, 0
	v_mov_b32_e32 v4, s9
	s_cselect_b64 s[0:1], -1, 0
	v_add_co_u32_e32 v3, vcc, s8, v5
	s_xor_b64 s[4:5], s[0:1], -1
	v_addc_co_u32_e32 v4, vcc, v4, v6, vcc
	v_mov_b32_e32 v8, s11
	s_cmp_lg_u32 s14, 1
	v_add_co_u32_e32 v5, vcc, s10, v5
	s_cselect_b64 s[14:15], -1, 0
	v_addc_co_u32_e32 v6, vcc, v8, v6, vcc
	s_mov_b64 s[8:9], 0
	s_waitcnt vmcnt(0)
	v_subrev_u32_e32 v7, s18, v7
	s_branch .LBB25_4
.LBB25_3:                               ;   in Loop: Header=BB25_4 Depth=1
	s_or_b64 exec, exec, s[0:1]
	v_add_co_u32_e32 v3, vcc, 8, v3
	v_add_u32_e32 v2, 1, v2
	v_addc_co_u32_e32 v4, vcc, 0, v4, vcc
	v_cmp_ge_i32_e32 vcc, v2, v11
	s_or_b64 s[8:9], vcc, s[8:9]
	v_add_co_u32_e32 v5, vcc, 8, v5
	v_addc_co_u32_e32 v6, vcc, 0, v6, vcc
	s_andn2_b64 exec, exec, s[8:9]
	s_cbranch_execz .LBB25_17
.LBB25_4:                               ; =>This Inner Loop Header: Depth=1
	global_load_dwordx2 v[9:10], v[3:4], off
	s_and_b64 vcc, exec, s[4:5]
	s_mov_b64 s[16:17], -1
                                        ; implicit-def: $sgpr10_sgpr11
	s_waitcnt vmcnt(0)
	v_subrev_co_u32_e64 v9, s[0:1], s12, v9
	v_subbrev_co_u32_e64 v10, s[0:1], 0, v10, s[0:1]
	s_cbranch_vccz .LBB25_10
; %bb.5:                                ;   in Loop: Header=BB25_4 Depth=1
	s_mov_b64 s[0:1], -1
	s_and_b64 vcc, exec, s[14:15]
                                        ; implicit-def: $sgpr10_sgpr11
	s_cbranch_vccz .LBB25_7
; %bb.6:                                ;   in Loop: Header=BB25_4 Depth=1
	v_cmp_ge_i64_e64 s[10:11], v[9:10], v[0:1]
	s_mov_b64 s[0:1], 0
.LBB25_7:                               ;   in Loop: Header=BB25_4 Depth=1
	s_andn2_b64 vcc, exec, s[0:1]
	s_cbranch_vccnz .LBB25_9
; %bb.8:                                ;   in Loop: Header=BB25_4 Depth=1
	v_cmp_gt_i64_e32 vcc, v[9:10], v[0:1]
	s_andn2_b64 s[0:1], s[10:11], exec
	s_and_b64 s[10:11], vcc, exec
	s_or_b64 s[10:11], s[0:1], s[10:11]
.LBB25_9:                               ;   in Loop: Header=BB25_4 Depth=1
	s_mov_b64 s[16:17], 0
.LBB25_10:                              ;   in Loop: Header=BB25_4 Depth=1
	s_andn2_b64 vcc, exec, s[16:17]
	s_cbranch_vccnz .LBB25_15
; %bb.11:                               ;   in Loop: Header=BB25_4 Depth=1
	s_mov_b64 s[0:1], -1
	s_and_b64 vcc, exec, s[14:15]
                                        ; implicit-def: $sgpr10_sgpr11
	s_cbranch_vccz .LBB25_13
; %bb.12:                               ;   in Loop: Header=BB25_4 Depth=1
	v_cmp_le_i64_e64 s[10:11], v[9:10], v[0:1]
	s_mov_b64 s[0:1], 0
.LBB25_13:                              ;   in Loop: Header=BB25_4 Depth=1
	s_andn2_b64 vcc, exec, s[0:1]
	s_cbranch_vccnz .LBB25_15
; %bb.14:                               ;   in Loop: Header=BB25_4 Depth=1
	v_cmp_lt_i64_e32 vcc, v[9:10], v[0:1]
	s_andn2_b64 s[0:1], s[10:11], exec
	s_and_b64 s[10:11], vcc, exec
	s_or_b64 s[10:11], s[0:1], s[10:11]
.LBB25_15:                              ;   in Loop: Header=BB25_4 Depth=1
	s_and_saveexec_b64 s[0:1], s[10:11]
	s_cbranch_execz .LBB25_3
; %bb.16:                               ;   in Loop: Header=BB25_4 Depth=1
	global_load_dwordx2 v[12:13], v[5:6], off
	v_ashrrev_i32_e32 v8, 31, v7
	v_add_u32_e32 v16, 1, v7
	v_add_co_u32_e32 v9, vcc, s18, v9
	v_lshlrev_b64 v[7:8], 3, v[7:8]
	v_addc_co_u32_e32 v10, vcc, 0, v10, vcc
	v_mov_b32_e32 v15, s7
	v_add_co_u32_e32 v14, vcc, s6, v7
	v_addc_co_u32_e32 v15, vcc, v15, v8, vcc
	v_mov_b32_e32 v17, s3
	v_add_co_u32_e32 v7, vcc, s2, v7
	v_addc_co_u32_e32 v8, vcc, v17, v8, vcc
	global_store_dwordx2 v[7:8], v[9:10], off
	s_waitcnt vmcnt(1)
	global_store_dwordx2 v[14:15], v[12:13], off
	v_mov_b32_e32 v7, v16
	s_branch .LBB25_3
.LBB25_17:
	s_endpgm
	.section	.rodata,"a",@progbits
	.p2align	6, 0x0
	.amdhsa_kernel _ZN9rocsparseL28internal_extract_fill_kernelILj1024E21rocsparse_complex_numIfEilEEvT2_PKT1_PKS3_PKT0_21rocsparse_index_base_b20rocsparse_diag_type_S6_PS3_PS9_SC_
		.amdhsa_group_segment_fixed_size 0
		.amdhsa_private_segment_fixed_size 0
		.amdhsa_kernarg_size 336
		.amdhsa_user_sgpr_count 6
		.amdhsa_user_sgpr_private_segment_buffer 1
		.amdhsa_user_sgpr_dispatch_ptr 0
		.amdhsa_user_sgpr_queue_ptr 0
		.amdhsa_user_sgpr_kernarg_segment_ptr 1
		.amdhsa_user_sgpr_dispatch_id 0
		.amdhsa_user_sgpr_flat_scratch_init 0
		.amdhsa_user_sgpr_private_segment_size 0
		.amdhsa_uses_dynamic_stack 0
		.amdhsa_system_sgpr_private_segment_wavefront_offset 0
		.amdhsa_system_sgpr_workgroup_id_x 1
		.amdhsa_system_sgpr_workgroup_id_y 0
		.amdhsa_system_sgpr_workgroup_id_z 0
		.amdhsa_system_sgpr_workgroup_info 0
		.amdhsa_system_vgpr_workitem_id 0
		.amdhsa_next_free_vgpr 18
		.amdhsa_next_free_sgpr 19
		.amdhsa_reserve_vcc 1
		.amdhsa_reserve_flat_scratch 0
		.amdhsa_float_round_mode_32 0
		.amdhsa_float_round_mode_16_64 0
		.amdhsa_float_denorm_mode_32 3
		.amdhsa_float_denorm_mode_16_64 3
		.amdhsa_dx10_clamp 1
		.amdhsa_ieee_mode 1
		.amdhsa_fp16_overflow 0
		.amdhsa_exception_fp_ieee_invalid_op 0
		.amdhsa_exception_fp_denorm_src 0
		.amdhsa_exception_fp_ieee_div_zero 0
		.amdhsa_exception_fp_ieee_overflow 0
		.amdhsa_exception_fp_ieee_underflow 0
		.amdhsa_exception_fp_ieee_inexact 0
		.amdhsa_exception_int_div_zero 0
	.end_amdhsa_kernel
	.section	.text._ZN9rocsparseL28internal_extract_fill_kernelILj1024E21rocsparse_complex_numIfEilEEvT2_PKT1_PKS3_PKT0_21rocsparse_index_base_b20rocsparse_diag_type_S6_PS3_PS9_SC_,"axG",@progbits,_ZN9rocsparseL28internal_extract_fill_kernelILj1024E21rocsparse_complex_numIfEilEEvT2_PKT1_PKS3_PKT0_21rocsparse_index_base_b20rocsparse_diag_type_S6_PS3_PS9_SC_,comdat
.Lfunc_end25:
	.size	_ZN9rocsparseL28internal_extract_fill_kernelILj1024E21rocsparse_complex_numIfEilEEvT2_PKT1_PKS3_PKT0_21rocsparse_index_base_b20rocsparse_diag_type_S6_PS3_PS9_SC_, .Lfunc_end25-_ZN9rocsparseL28internal_extract_fill_kernelILj1024E21rocsparse_complex_numIfEilEEvT2_PKT1_PKS3_PKT0_21rocsparse_index_base_b20rocsparse_diag_type_S6_PS3_PS9_SC_
                                        ; -- End function
	.set _ZN9rocsparseL28internal_extract_fill_kernelILj1024E21rocsparse_complex_numIfEilEEvT2_PKT1_PKS3_PKT0_21rocsparse_index_base_b20rocsparse_diag_type_S6_PS3_PS9_SC_.num_vgpr, 18
	.set _ZN9rocsparseL28internal_extract_fill_kernelILj1024E21rocsparse_complex_numIfEilEEvT2_PKT1_PKS3_PKT0_21rocsparse_index_base_b20rocsparse_diag_type_S6_PS3_PS9_SC_.num_agpr, 0
	.set _ZN9rocsparseL28internal_extract_fill_kernelILj1024E21rocsparse_complex_numIfEilEEvT2_PKT1_PKS3_PKT0_21rocsparse_index_base_b20rocsparse_diag_type_S6_PS3_PS9_SC_.numbered_sgpr, 19
	.set _ZN9rocsparseL28internal_extract_fill_kernelILj1024E21rocsparse_complex_numIfEilEEvT2_PKT1_PKS3_PKT0_21rocsparse_index_base_b20rocsparse_diag_type_S6_PS3_PS9_SC_.num_named_barrier, 0
	.set _ZN9rocsparseL28internal_extract_fill_kernelILj1024E21rocsparse_complex_numIfEilEEvT2_PKT1_PKS3_PKT0_21rocsparse_index_base_b20rocsparse_diag_type_S6_PS3_PS9_SC_.private_seg_size, 0
	.set _ZN9rocsparseL28internal_extract_fill_kernelILj1024E21rocsparse_complex_numIfEilEEvT2_PKT1_PKS3_PKT0_21rocsparse_index_base_b20rocsparse_diag_type_S6_PS3_PS9_SC_.uses_vcc, 1
	.set _ZN9rocsparseL28internal_extract_fill_kernelILj1024E21rocsparse_complex_numIfEilEEvT2_PKT1_PKS3_PKT0_21rocsparse_index_base_b20rocsparse_diag_type_S6_PS3_PS9_SC_.uses_flat_scratch, 0
	.set _ZN9rocsparseL28internal_extract_fill_kernelILj1024E21rocsparse_complex_numIfEilEEvT2_PKT1_PKS3_PKT0_21rocsparse_index_base_b20rocsparse_diag_type_S6_PS3_PS9_SC_.has_dyn_sized_stack, 0
	.set _ZN9rocsparseL28internal_extract_fill_kernelILj1024E21rocsparse_complex_numIfEilEEvT2_PKT1_PKS3_PKT0_21rocsparse_index_base_b20rocsparse_diag_type_S6_PS3_PS9_SC_.has_recursion, 0
	.set _ZN9rocsparseL28internal_extract_fill_kernelILj1024E21rocsparse_complex_numIfEilEEvT2_PKT1_PKS3_PKT0_21rocsparse_index_base_b20rocsparse_diag_type_S6_PS3_PS9_SC_.has_indirect_call, 0
	.section	.AMDGPU.csdata,"",@progbits
; Kernel info:
; codeLenInByte = 532
; TotalNumSgprs: 23
; NumVgprs: 18
; ScratchSize: 0
; MemoryBound: 0
; FloatMode: 240
; IeeeMode: 1
; LDSByteSize: 0 bytes/workgroup (compile time only)
; SGPRBlocks: 2
; VGPRBlocks: 4
; NumSGPRsForWavesPerEU: 23
; NumVGPRsForWavesPerEU: 18
; Occupancy: 10
; WaveLimiterHint : 0
; COMPUTE_PGM_RSRC2:SCRATCH_EN: 0
; COMPUTE_PGM_RSRC2:USER_SGPR: 6
; COMPUTE_PGM_RSRC2:TRAP_HANDLER: 0
; COMPUTE_PGM_RSRC2:TGID_X_EN: 1
; COMPUTE_PGM_RSRC2:TGID_Y_EN: 0
; COMPUTE_PGM_RSRC2:TGID_Z_EN: 0
; COMPUTE_PGM_RSRC2:TIDIG_COMP_CNT: 0
	.section	.text._ZN9rocsparseL28internal_extract_fill_kernelILj1024E21rocsparse_complex_numIfEliEEvT2_PKT1_PKS3_PKT0_21rocsparse_index_base_b20rocsparse_diag_type_S6_PS3_PS9_SC_,"axG",@progbits,_ZN9rocsparseL28internal_extract_fill_kernelILj1024E21rocsparse_complex_numIfEliEEvT2_PKT1_PKS3_PKT0_21rocsparse_index_base_b20rocsparse_diag_type_S6_PS3_PS9_SC_,comdat
	.globl	_ZN9rocsparseL28internal_extract_fill_kernelILj1024E21rocsparse_complex_numIfEliEEvT2_PKT1_PKS3_PKT0_21rocsparse_index_base_b20rocsparse_diag_type_S6_PS3_PS9_SC_ ; -- Begin function _ZN9rocsparseL28internal_extract_fill_kernelILj1024E21rocsparse_complex_numIfEliEEvT2_PKT1_PKS3_PKT0_21rocsparse_index_base_b20rocsparse_diag_type_S6_PS3_PS9_SC_
	.p2align	8
	.type	_ZN9rocsparseL28internal_extract_fill_kernelILj1024E21rocsparse_complex_numIfEliEEvT2_PKT1_PKS3_PKT0_21rocsparse_index_base_b20rocsparse_diag_type_S6_PS3_PS9_SC_,@function
_ZN9rocsparseL28internal_extract_fill_kernelILj1024E21rocsparse_complex_numIfEliEEvT2_PKT1_PKS3_PKT0_21rocsparse_index_base_b20rocsparse_diag_type_S6_PS3_PS9_SC_: ; @_ZN9rocsparseL28internal_extract_fill_kernelILj1024E21rocsparse_complex_numIfEliEEvT2_PKT1_PKS3_PKT0_21rocsparse_index_base_b20rocsparse_diag_type_S6_PS3_PS9_SC_
; %bb.0:
	s_load_dword s0, s[4:5], 0x0
	s_load_dword s2, s[4:5], 0x5c
	v_mov_b32_e32 v5, 0
	s_waitcnt lgkmcnt(0)
	s_ashr_i32 s1, s0, 31
	s_and_b32 s2, s2, 0xffff
	s_mul_i32 s6, s6, s2
	v_add_u32_e32 v4, s6, v0
	v_cmp_gt_i64_e32 vcc, s[0:1], v[4:5]
	s_and_saveexec_b64 s[0:1], vcc
	s_cbranch_execz .LBB26_17
; %bb.1:
	s_load_dwordx2 s[0:1], s[4:5], 0x8
	v_lshlrev_b64 v[5:6], 3, v[4:5]
	s_waitcnt lgkmcnt(0)
	v_mov_b32_e32 v1, s1
	v_add_co_u32_e32 v0, vcc, s0, v5
	v_addc_co_u32_e32 v1, vcc, v1, v6, vcc
	global_load_dwordx4 v[0:3], v[0:1], off
	s_waitcnt vmcnt(0)
	v_cmp_lt_i64_e32 vcc, v[0:1], v[2:3]
	s_and_b64 exec, exec, vcc
	s_cbranch_execz .LBB26_17
; %bb.2:
	s_load_dwordx4 s[0:3], s[4:5], 0x30
	s_waitcnt lgkmcnt(0)
	v_mov_b32_e32 v7, s1
	v_add_co_u32_e32 v5, vcc, s0, v5
	v_addc_co_u32_e32 v6, vcc, v7, v6, vcc
	global_load_dwordx2 v[9:10], v[5:6], off
	s_load_dwordx2 s[6:7], s[4:5], 0x40
	s_load_dwordx8 s[8:15], s[4:5], 0x10
	s_load_dword s16, s[4:5], 0x48
	s_mov_b32 s1, 0
	v_lshlrev_b64 v[5:6], 3, v[0:1]
	v_lshlrev_b64 v[7:8], 2, v[0:1]
	s_waitcnt lgkmcnt(0)
	s_bitcmp1_b32 s13, 0
	v_subrev_co_u32_e32 v2, vcc, s12, v2
	s_cselect_b64 s[4:5], -1, 0
	v_subbrev_co_u32_e32 v3, vcc, 0, v3, vcc
	s_xor_b64 s[4:5], s[4:5], -1
	s_mov_b32 s0, s12
	v_subrev_co_u32_e32 v0, vcc, s12, v0
	s_cmp_lg_u32 s14, 1
	v_subbrev_co_u32_e32 v1, vcc, 0, v1, vcc
	s_cselect_b64 s[14:15], -1, 0
	s_lshl_b64 s[18:19], s[0:1], 3
	v_mov_b32_e32 v13, s19
	v_subrev_co_u32_e32 v5, vcc, s18, v5
	s_lshl_b64 s[0:1], s[0:1], 2
	v_subb_co_u32_e32 v6, vcc, v6, v13, vcc
	v_mov_b32_e32 v14, s1
	v_subrev_co_u32_e32 v7, vcc, s0, v7
	v_subb_co_u32_e32 v8, vcc, v8, v14, vcc
	v_mov_b32_e32 v11, s11
	v_add_co_u32_e32 v5, vcc, s10, v5
	v_addc_co_u32_e32 v6, vcc, v11, v6, vcc
	v_mov_b32_e32 v12, s9
	v_add_co_u32_e32 v7, vcc, s8, v7
	v_addc_co_u32_e32 v8, vcc, v12, v8, vcc
	s_mov_b64 s[8:9], 0
	s_waitcnt vmcnt(0)
	v_subrev_co_u32_e32 v9, vcc, s16, v9
	v_subbrev_co_u32_e32 v10, vcc, 0, v10, vcc
	s_branch .LBB26_4
.LBB26_3:                               ;   in Loop: Header=BB26_4 Depth=1
	s_or_b64 exec, exec, s[10:11]
	v_add_co_u32_e32 v0, vcc, 1, v0
	v_addc_co_u32_e32 v1, vcc, 0, v1, vcc
	v_cmp_ge_i64_e32 vcc, v[0:1], v[2:3]
	v_add_co_u32_e64 v5, s[0:1], 8, v5
	s_or_b64 s[8:9], vcc, s[8:9]
	v_add_co_u32_e32 v7, vcc, 4, v7
	v_addc_co_u32_e64 v6, s[0:1], 0, v6, s[0:1]
	v_addc_co_u32_e32 v8, vcc, 0, v8, vcc
	s_andn2_b64 exec, exec, s[8:9]
	s_cbranch_execz .LBB26_17
.LBB26_4:                               ; =>This Inner Loop Header: Depth=1
	global_load_dword v11, v[7:8], off
	s_and_b64 vcc, exec, s[4:5]
	s_mov_b64 s[10:11], -1
                                        ; implicit-def: $sgpr0_sgpr1
	s_waitcnt vmcnt(0)
	v_subrev_u32_e32 v11, s12, v11
	s_cbranch_vccz .LBB26_10
; %bb.5:                                ;   in Loop: Header=BB26_4 Depth=1
	s_and_b64 vcc, exec, s[14:15]
                                        ; implicit-def: $sgpr0_sgpr1
	s_cbranch_vccz .LBB26_7
; %bb.6:                                ;   in Loop: Header=BB26_4 Depth=1
	v_cmp_le_i32_e64 s[0:1], v4, v11
	s_mov_b64 s[10:11], 0
.LBB26_7:                               ;   in Loop: Header=BB26_4 Depth=1
	s_andn2_b64 vcc, exec, s[10:11]
	s_cbranch_vccnz .LBB26_9
; %bb.8:                                ;   in Loop: Header=BB26_4 Depth=1
	v_cmp_lt_i32_e32 vcc, v4, v11
	s_andn2_b64 s[0:1], s[0:1], exec
	s_and_b64 s[10:11], vcc, exec
	s_or_b64 s[0:1], s[0:1], s[10:11]
.LBB26_9:                               ;   in Loop: Header=BB26_4 Depth=1
	s_mov_b64 s[10:11], 0
.LBB26_10:                              ;   in Loop: Header=BB26_4 Depth=1
	s_andn2_b64 vcc, exec, s[10:11]
	s_cbranch_vccnz .LBB26_15
; %bb.11:                               ;   in Loop: Header=BB26_4 Depth=1
	s_mov_b64 s[10:11], -1
	s_and_b64 vcc, exec, s[14:15]
                                        ; implicit-def: $sgpr0_sgpr1
	s_cbranch_vccz .LBB26_13
; %bb.12:                               ;   in Loop: Header=BB26_4 Depth=1
	v_cmp_ge_i32_e64 s[0:1], v4, v11
	s_mov_b64 s[10:11], 0
.LBB26_13:                              ;   in Loop: Header=BB26_4 Depth=1
	s_andn2_b64 vcc, exec, s[10:11]
	s_cbranch_vccnz .LBB26_15
; %bb.14:                               ;   in Loop: Header=BB26_4 Depth=1
	v_cmp_gt_i32_e32 vcc, v4, v11
	s_andn2_b64 s[0:1], s[0:1], exec
	s_and_b64 s[10:11], vcc, exec
	s_or_b64 s[0:1], s[0:1], s[10:11]
.LBB26_15:                              ;   in Loop: Header=BB26_4 Depth=1
	s_and_saveexec_b64 s[10:11], s[0:1]
	s_cbranch_execz .LBB26_3
; %bb.16:                               ;   in Loop: Header=BB26_4 Depth=1
	global_load_dwordx2 v[12:13], v[5:6], off
	v_add_co_u32_e32 v14, vcc, 1, v9
	v_lshlrev_b64 v[16:17], 3, v[9:10]
	v_addc_co_u32_e32 v15, vcc, 0, v10, vcc
	v_mov_b32_e32 v18, s7
	v_lshlrev_b64 v[9:10], 2, v[9:10]
	v_add_co_u32_e32 v16, vcc, s6, v16
	v_addc_co_u32_e32 v17, vcc, v18, v17, vcc
	v_mov_b32_e32 v19, s3
	v_add_co_u32_e32 v9, vcc, s2, v9
	v_add_u32_e32 v11, s16, v11
	v_addc_co_u32_e32 v10, vcc, v19, v10, vcc
	global_store_dword v[9:10], v11, off
	s_waitcnt vmcnt(1)
	global_store_dwordx2 v[16:17], v[12:13], off
	v_mov_b32_e32 v9, v14
	v_mov_b32_e32 v10, v15
	s_branch .LBB26_3
.LBB26_17:
	s_endpgm
	.section	.rodata,"a",@progbits
	.p2align	6, 0x0
	.amdhsa_kernel _ZN9rocsparseL28internal_extract_fill_kernelILj1024E21rocsparse_complex_numIfEliEEvT2_PKT1_PKS3_PKT0_21rocsparse_index_base_b20rocsparse_diag_type_S6_PS3_PS9_SC_
		.amdhsa_group_segment_fixed_size 0
		.amdhsa_private_segment_fixed_size 0
		.amdhsa_kernarg_size 336
		.amdhsa_user_sgpr_count 6
		.amdhsa_user_sgpr_private_segment_buffer 1
		.amdhsa_user_sgpr_dispatch_ptr 0
		.amdhsa_user_sgpr_queue_ptr 0
		.amdhsa_user_sgpr_kernarg_segment_ptr 1
		.amdhsa_user_sgpr_dispatch_id 0
		.amdhsa_user_sgpr_flat_scratch_init 0
		.amdhsa_user_sgpr_private_segment_size 0
		.amdhsa_uses_dynamic_stack 0
		.amdhsa_system_sgpr_private_segment_wavefront_offset 0
		.amdhsa_system_sgpr_workgroup_id_x 1
		.amdhsa_system_sgpr_workgroup_id_y 0
		.amdhsa_system_sgpr_workgroup_id_z 0
		.amdhsa_system_sgpr_workgroup_info 0
		.amdhsa_system_vgpr_workitem_id 0
		.amdhsa_next_free_vgpr 20
		.amdhsa_next_free_sgpr 20
		.amdhsa_reserve_vcc 1
		.amdhsa_reserve_flat_scratch 0
		.amdhsa_float_round_mode_32 0
		.amdhsa_float_round_mode_16_64 0
		.amdhsa_float_denorm_mode_32 3
		.amdhsa_float_denorm_mode_16_64 3
		.amdhsa_dx10_clamp 1
		.amdhsa_ieee_mode 1
		.amdhsa_fp16_overflow 0
		.amdhsa_exception_fp_ieee_invalid_op 0
		.amdhsa_exception_fp_denorm_src 0
		.amdhsa_exception_fp_ieee_div_zero 0
		.amdhsa_exception_fp_ieee_overflow 0
		.amdhsa_exception_fp_ieee_underflow 0
		.amdhsa_exception_fp_ieee_inexact 0
		.amdhsa_exception_int_div_zero 0
	.end_amdhsa_kernel
	.section	.text._ZN9rocsparseL28internal_extract_fill_kernelILj1024E21rocsparse_complex_numIfEliEEvT2_PKT1_PKS3_PKT0_21rocsparse_index_base_b20rocsparse_diag_type_S6_PS3_PS9_SC_,"axG",@progbits,_ZN9rocsparseL28internal_extract_fill_kernelILj1024E21rocsparse_complex_numIfEliEEvT2_PKT1_PKS3_PKT0_21rocsparse_index_base_b20rocsparse_diag_type_S6_PS3_PS9_SC_,comdat
.Lfunc_end26:
	.size	_ZN9rocsparseL28internal_extract_fill_kernelILj1024E21rocsparse_complex_numIfEliEEvT2_PKT1_PKS3_PKT0_21rocsparse_index_base_b20rocsparse_diag_type_S6_PS3_PS9_SC_, .Lfunc_end26-_ZN9rocsparseL28internal_extract_fill_kernelILj1024E21rocsparse_complex_numIfEliEEvT2_PKT1_PKS3_PKT0_21rocsparse_index_base_b20rocsparse_diag_type_S6_PS3_PS9_SC_
                                        ; -- End function
	.set _ZN9rocsparseL28internal_extract_fill_kernelILj1024E21rocsparse_complex_numIfEliEEvT2_PKT1_PKS3_PKT0_21rocsparse_index_base_b20rocsparse_diag_type_S6_PS3_PS9_SC_.num_vgpr, 20
	.set _ZN9rocsparseL28internal_extract_fill_kernelILj1024E21rocsparse_complex_numIfEliEEvT2_PKT1_PKS3_PKT0_21rocsparse_index_base_b20rocsparse_diag_type_S6_PS3_PS9_SC_.num_agpr, 0
	.set _ZN9rocsparseL28internal_extract_fill_kernelILj1024E21rocsparse_complex_numIfEliEEvT2_PKT1_PKS3_PKT0_21rocsparse_index_base_b20rocsparse_diag_type_S6_PS3_PS9_SC_.numbered_sgpr, 20
	.set _ZN9rocsparseL28internal_extract_fill_kernelILj1024E21rocsparse_complex_numIfEliEEvT2_PKT1_PKS3_PKT0_21rocsparse_index_base_b20rocsparse_diag_type_S6_PS3_PS9_SC_.num_named_barrier, 0
	.set _ZN9rocsparseL28internal_extract_fill_kernelILj1024E21rocsparse_complex_numIfEliEEvT2_PKT1_PKS3_PKT0_21rocsparse_index_base_b20rocsparse_diag_type_S6_PS3_PS9_SC_.private_seg_size, 0
	.set _ZN9rocsparseL28internal_extract_fill_kernelILj1024E21rocsparse_complex_numIfEliEEvT2_PKT1_PKS3_PKT0_21rocsparse_index_base_b20rocsparse_diag_type_S6_PS3_PS9_SC_.uses_vcc, 1
	.set _ZN9rocsparseL28internal_extract_fill_kernelILj1024E21rocsparse_complex_numIfEliEEvT2_PKT1_PKS3_PKT0_21rocsparse_index_base_b20rocsparse_diag_type_S6_PS3_PS9_SC_.uses_flat_scratch, 0
	.set _ZN9rocsparseL28internal_extract_fill_kernelILj1024E21rocsparse_complex_numIfEliEEvT2_PKT1_PKS3_PKT0_21rocsparse_index_base_b20rocsparse_diag_type_S6_PS3_PS9_SC_.has_dyn_sized_stack, 0
	.set _ZN9rocsparseL28internal_extract_fill_kernelILj1024E21rocsparse_complex_numIfEliEEvT2_PKT1_PKS3_PKT0_21rocsparse_index_base_b20rocsparse_diag_type_S6_PS3_PS9_SC_.has_recursion, 0
	.set _ZN9rocsparseL28internal_extract_fill_kernelILj1024E21rocsparse_complex_numIfEliEEvT2_PKT1_PKS3_PKT0_21rocsparse_index_base_b20rocsparse_diag_type_S6_PS3_PS9_SC_.has_indirect_call, 0
	.section	.AMDGPU.csdata,"",@progbits
; Kernel info:
; codeLenInByte = 596
; TotalNumSgprs: 24
; NumVgprs: 20
; ScratchSize: 0
; MemoryBound: 0
; FloatMode: 240
; IeeeMode: 1
; LDSByteSize: 0 bytes/workgroup (compile time only)
; SGPRBlocks: 2
; VGPRBlocks: 4
; NumSGPRsForWavesPerEU: 24
; NumVGPRsForWavesPerEU: 20
; Occupancy: 10
; WaveLimiterHint : 0
; COMPUTE_PGM_RSRC2:SCRATCH_EN: 0
; COMPUTE_PGM_RSRC2:USER_SGPR: 6
; COMPUTE_PGM_RSRC2:TRAP_HANDLER: 0
; COMPUTE_PGM_RSRC2:TGID_X_EN: 1
; COMPUTE_PGM_RSRC2:TGID_Y_EN: 0
; COMPUTE_PGM_RSRC2:TGID_Z_EN: 0
; COMPUTE_PGM_RSRC2:TIDIG_COMP_CNT: 0
	.section	.text._ZN9rocsparseL28internal_extract_fill_kernelILj1024E21rocsparse_complex_numIfEllEEvT2_PKT1_PKS3_PKT0_21rocsparse_index_base_b20rocsparse_diag_type_S6_PS3_PS9_SC_,"axG",@progbits,_ZN9rocsparseL28internal_extract_fill_kernelILj1024E21rocsparse_complex_numIfEllEEvT2_PKT1_PKS3_PKT0_21rocsparse_index_base_b20rocsparse_diag_type_S6_PS3_PS9_SC_,comdat
	.globl	_ZN9rocsparseL28internal_extract_fill_kernelILj1024E21rocsparse_complex_numIfEllEEvT2_PKT1_PKS3_PKT0_21rocsparse_index_base_b20rocsparse_diag_type_S6_PS3_PS9_SC_ ; -- Begin function _ZN9rocsparseL28internal_extract_fill_kernelILj1024E21rocsparse_complex_numIfEllEEvT2_PKT1_PKS3_PKT0_21rocsparse_index_base_b20rocsparse_diag_type_S6_PS3_PS9_SC_
	.p2align	8
	.type	_ZN9rocsparseL28internal_extract_fill_kernelILj1024E21rocsparse_complex_numIfEllEEvT2_PKT1_PKS3_PKT0_21rocsparse_index_base_b20rocsparse_diag_type_S6_PS3_PS9_SC_,@function
_ZN9rocsparseL28internal_extract_fill_kernelILj1024E21rocsparse_complex_numIfEllEEvT2_PKT1_PKS3_PKT0_21rocsparse_index_base_b20rocsparse_diag_type_S6_PS3_PS9_SC_: ; @_ZN9rocsparseL28internal_extract_fill_kernelILj1024E21rocsparse_complex_numIfEllEEvT2_PKT1_PKS3_PKT0_21rocsparse_index_base_b20rocsparse_diag_type_S6_PS3_PS9_SC_
; %bb.0:
	s_load_dword s2, s[4:5], 0x5c
	s_load_dwordx2 s[0:1], s[4:5], 0x0
	v_mov_b32_e32 v5, 0
	s_waitcnt lgkmcnt(0)
	s_and_b32 s2, s2, 0xffff
	s_mul_i32 s6, s6, s2
	v_add_u32_e32 v4, s6, v0
	v_cmp_gt_i64_e32 vcc, s[0:1], v[4:5]
	s_and_saveexec_b64 s[0:1], vcc
	s_cbranch_execz .LBB27_17
; %bb.1:
	s_load_dwordx2 s[0:1], s[4:5], 0x8
	v_lshlrev_b64 v[6:7], 3, v[4:5]
	s_waitcnt lgkmcnt(0)
	v_mov_b32_e32 v1, s1
	v_add_co_u32_e32 v0, vcc, s0, v6
	v_addc_co_u32_e32 v1, vcc, v1, v7, vcc
	global_load_dwordx4 v[0:3], v[0:1], off
	s_waitcnt vmcnt(0)
	v_cmp_lt_i64_e32 vcc, v[0:1], v[2:3]
	s_and_b64 exec, exec, vcc
	s_cbranch_execz .LBB27_17
; %bb.2:
	s_load_dwordx4 s[0:3], s[4:5], 0x30
	s_mov_b64 s[12:13], 0
	s_waitcnt lgkmcnt(0)
	v_mov_b32_e32 v8, s1
	v_add_co_u32_e32 v6, vcc, s0, v6
	v_addc_co_u32_e32 v7, vcc, v8, v7, vcc
	global_load_dwordx2 v[10:11], v[6:7], off
	s_load_dwordx8 s[20:27], s[4:5], 0x10
	s_load_dwordx2 s[6:7], s[4:5], 0x40
	s_load_dword s18, s[4:5], 0x48
	s_mov_b32 s5, 0
	v_lshlrev_b64 v[6:7], 3, v[0:1]
	s_waitcnt lgkmcnt(0)
	s_bitcmp1_b32 s25, 0
	v_subrev_co_u32_e32 v2, vcc, s24, v2
	s_cselect_b64 s[0:1], -1, 0
	v_subbrev_co_u32_e32 v3, vcc, 0, v3, vcc
	s_xor_b64 s[8:9], s[0:1], -1
	s_mov_b32 s4, s24
	v_subrev_co_u32_e32 v0, vcc, s24, v0
	s_cmp_lg_u32 s26, 1
	v_subbrev_co_u32_e32 v1, vcc, 0, v1, vcc
	s_cselect_b64 s[10:11], -1, 0
	s_lshl_b64 s[0:1], s[4:5], 3
	v_mov_b32_e32 v12, s1
	v_subrev_co_u32_e32 v13, vcc, s0, v6
	v_subb_co_u32_e32 v12, vcc, v7, v12, vcc
	v_mov_b32_e32 v8, s23
	v_add_co_u32_e32 v6, vcc, s22, v13
	v_addc_co_u32_e32 v7, vcc, v8, v12, vcc
	v_mov_b32_e32 v9, s21
	v_add_co_u32_e32 v8, vcc, s20, v13
	v_addc_co_u32_e32 v9, vcc, v9, v12, vcc
	s_waitcnt vmcnt(0)
	v_subrev_co_u32_e32 v10, vcc, s18, v10
	v_subbrev_co_u32_e32 v11, vcc, 0, v11, vcc
	s_branch .LBB27_4
.LBB27_3:                               ;   in Loop: Header=BB27_4 Depth=1
	s_or_b64 exec, exec, s[0:1]
	v_add_co_u32_e32 v0, vcc, 1, v0
	v_addc_co_u32_e32 v1, vcc, 0, v1, vcc
	v_cmp_ge_i64_e32 vcc, v[0:1], v[2:3]
	v_add_co_u32_e64 v6, s[0:1], 8, v6
	s_or_b64 s[12:13], vcc, s[12:13]
	v_add_co_u32_e32 v8, vcc, 8, v8
	v_addc_co_u32_e64 v7, s[0:1], 0, v7, s[0:1]
	v_addc_co_u32_e32 v9, vcc, 0, v9, vcc
	s_andn2_b64 exec, exec, s[12:13]
	s_cbranch_execz .LBB27_17
.LBB27_4:                               ; =>This Inner Loop Header: Depth=1
	global_load_dwordx2 v[12:13], v[8:9], off
	s_and_b64 vcc, exec, s[8:9]
	s_mov_b64 s[16:17], -1
                                        ; implicit-def: $sgpr14_sgpr15
	s_waitcnt vmcnt(0)
	v_subrev_co_u32_e64 v12, s[0:1], s4, v12
	v_subbrev_co_u32_e64 v13, s[0:1], 0, v13, s[0:1]
	s_cbranch_vccz .LBB27_10
; %bb.5:                                ;   in Loop: Header=BB27_4 Depth=1
	s_mov_b64 s[0:1], -1
	s_and_b64 vcc, exec, s[10:11]
                                        ; implicit-def: $sgpr14_sgpr15
	s_cbranch_vccz .LBB27_7
; %bb.6:                                ;   in Loop: Header=BB27_4 Depth=1
	v_cmp_ge_i64_e64 s[14:15], v[12:13], v[4:5]
	s_mov_b64 s[0:1], 0
.LBB27_7:                               ;   in Loop: Header=BB27_4 Depth=1
	s_andn2_b64 vcc, exec, s[0:1]
	s_cbranch_vccnz .LBB27_9
; %bb.8:                                ;   in Loop: Header=BB27_4 Depth=1
	v_cmp_gt_i64_e32 vcc, v[12:13], v[4:5]
	s_andn2_b64 s[0:1], s[14:15], exec
	s_and_b64 s[14:15], vcc, exec
	s_or_b64 s[14:15], s[0:1], s[14:15]
.LBB27_9:                               ;   in Loop: Header=BB27_4 Depth=1
	s_mov_b64 s[16:17], 0
.LBB27_10:                              ;   in Loop: Header=BB27_4 Depth=1
	s_andn2_b64 vcc, exec, s[16:17]
	s_cbranch_vccnz .LBB27_15
; %bb.11:                               ;   in Loop: Header=BB27_4 Depth=1
	s_mov_b64 s[0:1], -1
	s_and_b64 vcc, exec, s[10:11]
                                        ; implicit-def: $sgpr14_sgpr15
	s_cbranch_vccz .LBB27_13
; %bb.12:                               ;   in Loop: Header=BB27_4 Depth=1
	v_cmp_le_i64_e64 s[14:15], v[12:13], v[4:5]
	s_mov_b64 s[0:1], 0
.LBB27_13:                              ;   in Loop: Header=BB27_4 Depth=1
	s_andn2_b64 vcc, exec, s[0:1]
	s_cbranch_vccnz .LBB27_15
; %bb.14:                               ;   in Loop: Header=BB27_4 Depth=1
	v_cmp_lt_i64_e32 vcc, v[12:13], v[4:5]
	s_andn2_b64 s[0:1], s[14:15], exec
	s_and_b64 s[14:15], vcc, exec
	s_or_b64 s[14:15], s[0:1], s[14:15]
.LBB27_15:                              ;   in Loop: Header=BB27_4 Depth=1
	s_and_saveexec_b64 s[0:1], s[14:15]
	s_cbranch_execz .LBB27_3
; %bb.16:                               ;   in Loop: Header=BB27_4 Depth=1
	global_load_dwordx2 v[14:15], v[6:7], off
	v_add_co_u32_e32 v16, vcc, 1, v10
	v_addc_co_u32_e32 v17, vcc, 0, v11, vcc
	v_lshlrev_b64 v[10:11], 3, v[10:11]
	v_add_co_u32_e32 v12, vcc, s18, v12
	v_addc_co_u32_e32 v13, vcc, 0, v13, vcc
	v_mov_b32_e32 v19, s7
	v_add_co_u32_e32 v18, vcc, s6, v10
	v_addc_co_u32_e32 v19, vcc, v19, v11, vcc
	v_mov_b32_e32 v20, s3
	v_add_co_u32_e32 v10, vcc, s2, v10
	v_addc_co_u32_e32 v11, vcc, v20, v11, vcc
	global_store_dwordx2 v[10:11], v[12:13], off
	s_waitcnt vmcnt(1)
	global_store_dwordx2 v[18:19], v[14:15], off
	v_mov_b32_e32 v10, v16
	v_mov_b32_e32 v11, v17
	s_branch .LBB27_3
.LBB27_17:
	s_endpgm
	.section	.rodata,"a",@progbits
	.p2align	6, 0x0
	.amdhsa_kernel _ZN9rocsparseL28internal_extract_fill_kernelILj1024E21rocsparse_complex_numIfEllEEvT2_PKT1_PKS3_PKT0_21rocsparse_index_base_b20rocsparse_diag_type_S6_PS3_PS9_SC_
		.amdhsa_group_segment_fixed_size 0
		.amdhsa_private_segment_fixed_size 0
		.amdhsa_kernarg_size 336
		.amdhsa_user_sgpr_count 6
		.amdhsa_user_sgpr_private_segment_buffer 1
		.amdhsa_user_sgpr_dispatch_ptr 0
		.amdhsa_user_sgpr_queue_ptr 0
		.amdhsa_user_sgpr_kernarg_segment_ptr 1
		.amdhsa_user_sgpr_dispatch_id 0
		.amdhsa_user_sgpr_flat_scratch_init 0
		.amdhsa_user_sgpr_private_segment_size 0
		.amdhsa_uses_dynamic_stack 0
		.amdhsa_system_sgpr_private_segment_wavefront_offset 0
		.amdhsa_system_sgpr_workgroup_id_x 1
		.amdhsa_system_sgpr_workgroup_id_y 0
		.amdhsa_system_sgpr_workgroup_id_z 0
		.amdhsa_system_sgpr_workgroup_info 0
		.amdhsa_system_vgpr_workitem_id 0
		.amdhsa_next_free_vgpr 21
		.amdhsa_next_free_sgpr 28
		.amdhsa_reserve_vcc 1
		.amdhsa_reserve_flat_scratch 0
		.amdhsa_float_round_mode_32 0
		.amdhsa_float_round_mode_16_64 0
		.amdhsa_float_denorm_mode_32 3
		.amdhsa_float_denorm_mode_16_64 3
		.amdhsa_dx10_clamp 1
		.amdhsa_ieee_mode 1
		.amdhsa_fp16_overflow 0
		.amdhsa_exception_fp_ieee_invalid_op 0
		.amdhsa_exception_fp_denorm_src 0
		.amdhsa_exception_fp_ieee_div_zero 0
		.amdhsa_exception_fp_ieee_overflow 0
		.amdhsa_exception_fp_ieee_underflow 0
		.amdhsa_exception_fp_ieee_inexact 0
		.amdhsa_exception_int_div_zero 0
	.end_amdhsa_kernel
	.section	.text._ZN9rocsparseL28internal_extract_fill_kernelILj1024E21rocsparse_complex_numIfEllEEvT2_PKT1_PKS3_PKT0_21rocsparse_index_base_b20rocsparse_diag_type_S6_PS3_PS9_SC_,"axG",@progbits,_ZN9rocsparseL28internal_extract_fill_kernelILj1024E21rocsparse_complex_numIfEllEEvT2_PKT1_PKS3_PKT0_21rocsparse_index_base_b20rocsparse_diag_type_S6_PS3_PS9_SC_,comdat
.Lfunc_end27:
	.size	_ZN9rocsparseL28internal_extract_fill_kernelILj1024E21rocsparse_complex_numIfEllEEvT2_PKT1_PKS3_PKT0_21rocsparse_index_base_b20rocsparse_diag_type_S6_PS3_PS9_SC_, .Lfunc_end27-_ZN9rocsparseL28internal_extract_fill_kernelILj1024E21rocsparse_complex_numIfEllEEvT2_PKT1_PKS3_PKT0_21rocsparse_index_base_b20rocsparse_diag_type_S6_PS3_PS9_SC_
                                        ; -- End function
	.set _ZN9rocsparseL28internal_extract_fill_kernelILj1024E21rocsparse_complex_numIfEllEEvT2_PKT1_PKS3_PKT0_21rocsparse_index_base_b20rocsparse_diag_type_S6_PS3_PS9_SC_.num_vgpr, 21
	.set _ZN9rocsparseL28internal_extract_fill_kernelILj1024E21rocsparse_complex_numIfEllEEvT2_PKT1_PKS3_PKT0_21rocsparse_index_base_b20rocsparse_diag_type_S6_PS3_PS9_SC_.num_agpr, 0
	.set _ZN9rocsparseL28internal_extract_fill_kernelILj1024E21rocsparse_complex_numIfEllEEvT2_PKT1_PKS3_PKT0_21rocsparse_index_base_b20rocsparse_diag_type_S6_PS3_PS9_SC_.numbered_sgpr, 28
	.set _ZN9rocsparseL28internal_extract_fill_kernelILj1024E21rocsparse_complex_numIfEllEEvT2_PKT1_PKS3_PKT0_21rocsparse_index_base_b20rocsparse_diag_type_S6_PS3_PS9_SC_.num_named_barrier, 0
	.set _ZN9rocsparseL28internal_extract_fill_kernelILj1024E21rocsparse_complex_numIfEllEEvT2_PKT1_PKS3_PKT0_21rocsparse_index_base_b20rocsparse_diag_type_S6_PS3_PS9_SC_.private_seg_size, 0
	.set _ZN9rocsparseL28internal_extract_fill_kernelILj1024E21rocsparse_complex_numIfEllEEvT2_PKT1_PKS3_PKT0_21rocsparse_index_base_b20rocsparse_diag_type_S6_PS3_PS9_SC_.uses_vcc, 1
	.set _ZN9rocsparseL28internal_extract_fill_kernelILj1024E21rocsparse_complex_numIfEllEEvT2_PKT1_PKS3_PKT0_21rocsparse_index_base_b20rocsparse_diag_type_S6_PS3_PS9_SC_.uses_flat_scratch, 0
	.set _ZN9rocsparseL28internal_extract_fill_kernelILj1024E21rocsparse_complex_numIfEllEEvT2_PKT1_PKS3_PKT0_21rocsparse_index_base_b20rocsparse_diag_type_S6_PS3_PS9_SC_.has_dyn_sized_stack, 0
	.set _ZN9rocsparseL28internal_extract_fill_kernelILj1024E21rocsparse_complex_numIfEllEEvT2_PKT1_PKS3_PKT0_21rocsparse_index_base_b20rocsparse_diag_type_S6_PS3_PS9_SC_.has_recursion, 0
	.set _ZN9rocsparseL28internal_extract_fill_kernelILj1024E21rocsparse_complex_numIfEllEEvT2_PKT1_PKS3_PKT0_21rocsparse_index_base_b20rocsparse_diag_type_S6_PS3_PS9_SC_.has_indirect_call, 0
	.section	.AMDGPU.csdata,"",@progbits
; Kernel info:
; codeLenInByte = 580
; TotalNumSgprs: 32
; NumVgprs: 21
; ScratchSize: 0
; MemoryBound: 0
; FloatMode: 240
; IeeeMode: 1
; LDSByteSize: 0 bytes/workgroup (compile time only)
; SGPRBlocks: 3
; VGPRBlocks: 5
; NumSGPRsForWavesPerEU: 32
; NumVGPRsForWavesPerEU: 21
; Occupancy: 10
; WaveLimiterHint : 0
; COMPUTE_PGM_RSRC2:SCRATCH_EN: 0
; COMPUTE_PGM_RSRC2:USER_SGPR: 6
; COMPUTE_PGM_RSRC2:TRAP_HANDLER: 0
; COMPUTE_PGM_RSRC2:TGID_X_EN: 1
; COMPUTE_PGM_RSRC2:TGID_Y_EN: 0
; COMPUTE_PGM_RSRC2:TGID_Z_EN: 0
; COMPUTE_PGM_RSRC2:TIDIG_COMP_CNT: 0
	.section	.text._ZN9rocsparseL28internal_extract_fill_kernelILj1024E21rocsparse_complex_numIdEiiEEvT2_PKT1_PKS3_PKT0_21rocsparse_index_base_b20rocsparse_diag_type_S6_PS3_PS9_SC_,"axG",@progbits,_ZN9rocsparseL28internal_extract_fill_kernelILj1024E21rocsparse_complex_numIdEiiEEvT2_PKT1_PKS3_PKT0_21rocsparse_index_base_b20rocsparse_diag_type_S6_PS3_PS9_SC_,comdat
	.globl	_ZN9rocsparseL28internal_extract_fill_kernelILj1024E21rocsparse_complex_numIdEiiEEvT2_PKT1_PKS3_PKT0_21rocsparse_index_base_b20rocsparse_diag_type_S6_PS3_PS9_SC_ ; -- Begin function _ZN9rocsparseL28internal_extract_fill_kernelILj1024E21rocsparse_complex_numIdEiiEEvT2_PKT1_PKS3_PKT0_21rocsparse_index_base_b20rocsparse_diag_type_S6_PS3_PS9_SC_
	.p2align	8
	.type	_ZN9rocsparseL28internal_extract_fill_kernelILj1024E21rocsparse_complex_numIdEiiEEvT2_PKT1_PKS3_PKT0_21rocsparse_index_base_b20rocsparse_diag_type_S6_PS3_PS9_SC_,@function
_ZN9rocsparseL28internal_extract_fill_kernelILj1024E21rocsparse_complex_numIdEiiEEvT2_PKT1_PKS3_PKT0_21rocsparse_index_base_b20rocsparse_diag_type_S6_PS3_PS9_SC_: ; @_ZN9rocsparseL28internal_extract_fill_kernelILj1024E21rocsparse_complex_numIdEiiEEvT2_PKT1_PKS3_PKT0_21rocsparse_index_base_b20rocsparse_diag_type_S6_PS3_PS9_SC_
; %bb.0:
	s_load_dword s0, s[4:5], 0x5c
	s_load_dword s1, s[4:5], 0x0
	s_waitcnt lgkmcnt(0)
	s_and_b32 s0, s0, 0xffff
	s_mul_i32 s6, s6, s0
	v_add_u32_e32 v0, s6, v0
	v_cmp_gt_i32_e32 vcc, s1, v0
	s_and_saveexec_b64 s[0:1], vcc
	s_cbranch_execz .LBB28_17
; %bb.1:
	s_load_dwordx2 s[0:1], s[4:5], 0x8
	v_ashrrev_i32_e32 v1, 31, v0
	v_lshlrev_b64 v[3:4], 2, v[0:1]
	s_waitcnt lgkmcnt(0)
	v_mov_b32_e32 v2, s1
	v_add_co_u32_e32 v1, vcc, s0, v3
	v_addc_co_u32_e32 v2, vcc, v2, v4, vcc
	global_load_dwordx2 v[1:2], v[1:2], off
	s_waitcnt vmcnt(0)
	v_cmp_lt_i32_e32 vcc, v1, v2
	s_and_b64 exec, exec, vcc
	s_cbranch_execz .LBB28_17
; %bb.2:
	s_load_dwordx4 s[0:3], s[4:5], 0x30
	s_waitcnt lgkmcnt(0)
	v_mov_b32_e32 v5, s1
	v_add_co_u32_e32 v3, vcc, s0, v3
	v_addc_co_u32_e32 v4, vcc, v5, v4, vcc
	global_load_dword v7, v[3:4], off
	s_load_dwordx8 s[8:15], s[4:5], 0x10
	s_load_dwordx2 s[0:1], s[4:5], 0x40
	s_load_dword s16, s[4:5], 0x48
	s_waitcnt lgkmcnt(0)
	v_subrev_u32_e32 v1, s12, v1
	v_subrev_u32_e32 v8, s12, v2
	v_ashrrev_i32_e32 v2, 31, v1
	v_lshlrev_b64 v[3:4], 2, v[1:2]
	s_bitcmp1_b32 s13, 0
	v_mov_b32_e32 v9, s9
	s_cselect_b64 s[4:5], -1, 0
	v_lshlrev_b64 v[5:6], 4, v[1:2]
	v_add_co_u32_e32 v2, vcc, s8, v3
	s_xor_b64 s[4:5], s[4:5], -1
	v_addc_co_u32_e32 v3, vcc, v9, v4, vcc
	v_mov_b32_e32 v10, s11
	s_cmp_lg_u32 s14, 1
	v_add_co_u32_e32 v4, vcc, s10, v5
	s_cselect_b64 s[6:7], -1, 0
	v_addc_co_u32_e32 v5, vcc, v10, v6, vcc
	s_mov_b64 s[8:9], 0
	s_waitcnt vmcnt(0)
	v_subrev_u32_e32 v6, s16, v7
	s_branch .LBB28_4
.LBB28_3:                               ;   in Loop: Header=BB28_4 Depth=1
	s_or_b64 exec, exec, s[14:15]
	v_add_co_u32_e32 v2, vcc, 4, v2
	v_add_u32_e32 v1, 1, v1
	v_addc_co_u32_e32 v3, vcc, 0, v3, vcc
	v_cmp_ge_i32_e32 vcc, v1, v8
	s_or_b64 s[8:9], vcc, s[8:9]
	v_add_co_u32_e32 v4, vcc, 16, v4
	v_addc_co_u32_e32 v5, vcc, 0, v5, vcc
	s_andn2_b64 exec, exec, s[8:9]
	s_cbranch_execz .LBB28_17
.LBB28_4:                               ; =>This Inner Loop Header: Depth=1
	global_load_dword v7, v[2:3], off
	s_and_b64 vcc, exec, s[4:5]
	s_mov_b64 s[14:15], -1
                                        ; implicit-def: $sgpr10_sgpr11
	s_waitcnt vmcnt(0)
	v_subrev_u32_e32 v9, s12, v7
	s_cbranch_vccz .LBB28_10
; %bb.5:                                ;   in Loop: Header=BB28_4 Depth=1
	s_and_b64 vcc, exec, s[6:7]
                                        ; implicit-def: $sgpr10_sgpr11
	s_cbranch_vccz .LBB28_7
; %bb.6:                                ;   in Loop: Header=BB28_4 Depth=1
	v_cmp_le_i32_e64 s[10:11], v0, v9
	s_mov_b64 s[14:15], 0
.LBB28_7:                               ;   in Loop: Header=BB28_4 Depth=1
	s_andn2_b64 vcc, exec, s[14:15]
	s_cbranch_vccnz .LBB28_9
; %bb.8:                                ;   in Loop: Header=BB28_4 Depth=1
	v_cmp_lt_i32_e32 vcc, v0, v9
	s_andn2_b64 s[10:11], s[10:11], exec
	s_and_b64 s[14:15], vcc, exec
	s_or_b64 s[10:11], s[10:11], s[14:15]
.LBB28_9:                               ;   in Loop: Header=BB28_4 Depth=1
	s_mov_b64 s[14:15], 0
.LBB28_10:                              ;   in Loop: Header=BB28_4 Depth=1
	s_andn2_b64 vcc, exec, s[14:15]
	s_cbranch_vccnz .LBB28_15
; %bb.11:                               ;   in Loop: Header=BB28_4 Depth=1
	s_mov_b64 s[14:15], -1
	s_and_b64 vcc, exec, s[6:7]
                                        ; implicit-def: $sgpr10_sgpr11
	s_cbranch_vccz .LBB28_13
; %bb.12:                               ;   in Loop: Header=BB28_4 Depth=1
	v_cmp_ge_i32_e64 s[10:11], v0, v9
	s_mov_b64 s[14:15], 0
.LBB28_13:                              ;   in Loop: Header=BB28_4 Depth=1
	s_andn2_b64 vcc, exec, s[14:15]
	s_cbranch_vccnz .LBB28_15
; %bb.14:                               ;   in Loop: Header=BB28_4 Depth=1
	v_cmp_gt_i32_e32 vcc, v0, v9
	s_andn2_b64 s[10:11], s[10:11], exec
	s_and_b64 s[14:15], vcc, exec
	s_or_b64 s[10:11], s[10:11], s[14:15]
.LBB28_15:                              ;   in Loop: Header=BB28_4 Depth=1
	s_and_saveexec_b64 s[14:15], s[10:11]
	s_cbranch_execz .LBB28_3
; %bb.16:                               ;   in Loop: Header=BB28_4 Depth=1
	global_load_dwordx4 v[10:13], v[4:5], off
	v_ashrrev_i32_e32 v7, 31, v6
	v_lshlrev_b64 v[14:15], 4, v[6:7]
	v_add_u32_e32 v16, 1, v6
	v_mov_b32_e32 v17, s1
	v_lshlrev_b64 v[6:7], 2, v[6:7]
	v_add_co_u32_e32 v14, vcc, s0, v14
	v_addc_co_u32_e32 v15, vcc, v17, v15, vcc
	v_mov_b32_e32 v18, s3
	v_add_co_u32_e32 v6, vcc, s2, v6
	v_add_u32_e32 v9, s16, v9
	v_addc_co_u32_e32 v7, vcc, v18, v7, vcc
	global_store_dword v[6:7], v9, off
	s_waitcnt vmcnt(1)
	global_store_dwordx4 v[14:15], v[10:13], off
	v_mov_b32_e32 v6, v16
	s_branch .LBB28_3
.LBB28_17:
	s_endpgm
	.section	.rodata,"a",@progbits
	.p2align	6, 0x0
	.amdhsa_kernel _ZN9rocsparseL28internal_extract_fill_kernelILj1024E21rocsparse_complex_numIdEiiEEvT2_PKT1_PKS3_PKT0_21rocsparse_index_base_b20rocsparse_diag_type_S6_PS3_PS9_SC_
		.amdhsa_group_segment_fixed_size 0
		.amdhsa_private_segment_fixed_size 0
		.amdhsa_kernarg_size 336
		.amdhsa_user_sgpr_count 6
		.amdhsa_user_sgpr_private_segment_buffer 1
		.amdhsa_user_sgpr_dispatch_ptr 0
		.amdhsa_user_sgpr_queue_ptr 0
		.amdhsa_user_sgpr_kernarg_segment_ptr 1
		.amdhsa_user_sgpr_dispatch_id 0
		.amdhsa_user_sgpr_flat_scratch_init 0
		.amdhsa_user_sgpr_private_segment_size 0
		.amdhsa_uses_dynamic_stack 0
		.amdhsa_system_sgpr_private_segment_wavefront_offset 0
		.amdhsa_system_sgpr_workgroup_id_x 1
		.amdhsa_system_sgpr_workgroup_id_y 0
		.amdhsa_system_sgpr_workgroup_id_z 0
		.amdhsa_system_sgpr_workgroup_info 0
		.amdhsa_system_vgpr_workitem_id 0
		.amdhsa_next_free_vgpr 19
		.amdhsa_next_free_sgpr 17
		.amdhsa_reserve_vcc 1
		.amdhsa_reserve_flat_scratch 0
		.amdhsa_float_round_mode_32 0
		.amdhsa_float_round_mode_16_64 0
		.amdhsa_float_denorm_mode_32 3
		.amdhsa_float_denorm_mode_16_64 3
		.amdhsa_dx10_clamp 1
		.amdhsa_ieee_mode 1
		.amdhsa_fp16_overflow 0
		.amdhsa_exception_fp_ieee_invalid_op 0
		.amdhsa_exception_fp_denorm_src 0
		.amdhsa_exception_fp_ieee_div_zero 0
		.amdhsa_exception_fp_ieee_overflow 0
		.amdhsa_exception_fp_ieee_underflow 0
		.amdhsa_exception_fp_ieee_inexact 0
		.amdhsa_exception_int_div_zero 0
	.end_amdhsa_kernel
	.section	.text._ZN9rocsparseL28internal_extract_fill_kernelILj1024E21rocsparse_complex_numIdEiiEEvT2_PKT1_PKS3_PKT0_21rocsparse_index_base_b20rocsparse_diag_type_S6_PS3_PS9_SC_,"axG",@progbits,_ZN9rocsparseL28internal_extract_fill_kernelILj1024E21rocsparse_complex_numIdEiiEEvT2_PKT1_PKS3_PKT0_21rocsparse_index_base_b20rocsparse_diag_type_S6_PS3_PS9_SC_,comdat
.Lfunc_end28:
	.size	_ZN9rocsparseL28internal_extract_fill_kernelILj1024E21rocsparse_complex_numIdEiiEEvT2_PKT1_PKS3_PKT0_21rocsparse_index_base_b20rocsparse_diag_type_S6_PS3_PS9_SC_, .Lfunc_end28-_ZN9rocsparseL28internal_extract_fill_kernelILj1024E21rocsparse_complex_numIdEiiEEvT2_PKT1_PKS3_PKT0_21rocsparse_index_base_b20rocsparse_diag_type_S6_PS3_PS9_SC_
                                        ; -- End function
	.set _ZN9rocsparseL28internal_extract_fill_kernelILj1024E21rocsparse_complex_numIdEiiEEvT2_PKT1_PKS3_PKT0_21rocsparse_index_base_b20rocsparse_diag_type_S6_PS3_PS9_SC_.num_vgpr, 19
	.set _ZN9rocsparseL28internal_extract_fill_kernelILj1024E21rocsparse_complex_numIdEiiEEvT2_PKT1_PKS3_PKT0_21rocsparse_index_base_b20rocsparse_diag_type_S6_PS3_PS9_SC_.num_agpr, 0
	.set _ZN9rocsparseL28internal_extract_fill_kernelILj1024E21rocsparse_complex_numIdEiiEEvT2_PKT1_PKS3_PKT0_21rocsparse_index_base_b20rocsparse_diag_type_S6_PS3_PS9_SC_.numbered_sgpr, 17
	.set _ZN9rocsparseL28internal_extract_fill_kernelILj1024E21rocsparse_complex_numIdEiiEEvT2_PKT1_PKS3_PKT0_21rocsparse_index_base_b20rocsparse_diag_type_S6_PS3_PS9_SC_.num_named_barrier, 0
	.set _ZN9rocsparseL28internal_extract_fill_kernelILj1024E21rocsparse_complex_numIdEiiEEvT2_PKT1_PKS3_PKT0_21rocsparse_index_base_b20rocsparse_diag_type_S6_PS3_PS9_SC_.private_seg_size, 0
	.set _ZN9rocsparseL28internal_extract_fill_kernelILj1024E21rocsparse_complex_numIdEiiEEvT2_PKT1_PKS3_PKT0_21rocsparse_index_base_b20rocsparse_diag_type_S6_PS3_PS9_SC_.uses_vcc, 1
	.set _ZN9rocsparseL28internal_extract_fill_kernelILj1024E21rocsparse_complex_numIdEiiEEvT2_PKT1_PKS3_PKT0_21rocsparse_index_base_b20rocsparse_diag_type_S6_PS3_PS9_SC_.uses_flat_scratch, 0
	.set _ZN9rocsparseL28internal_extract_fill_kernelILj1024E21rocsparse_complex_numIdEiiEEvT2_PKT1_PKS3_PKT0_21rocsparse_index_base_b20rocsparse_diag_type_S6_PS3_PS9_SC_.has_dyn_sized_stack, 0
	.set _ZN9rocsparseL28internal_extract_fill_kernelILj1024E21rocsparse_complex_numIdEiiEEvT2_PKT1_PKS3_PKT0_21rocsparse_index_base_b20rocsparse_diag_type_S6_PS3_PS9_SC_.has_recursion, 0
	.set _ZN9rocsparseL28internal_extract_fill_kernelILj1024E21rocsparse_complex_numIdEiiEEvT2_PKT1_PKS3_PKT0_21rocsparse_index_base_b20rocsparse_diag_type_S6_PS3_PS9_SC_.has_indirect_call, 0
	.section	.AMDGPU.csdata,"",@progbits
; Kernel info:
; codeLenInByte = 528
; TotalNumSgprs: 21
; NumVgprs: 19
; ScratchSize: 0
; MemoryBound: 0
; FloatMode: 240
; IeeeMode: 1
; LDSByteSize: 0 bytes/workgroup (compile time only)
; SGPRBlocks: 2
; VGPRBlocks: 4
; NumSGPRsForWavesPerEU: 21
; NumVGPRsForWavesPerEU: 19
; Occupancy: 10
; WaveLimiterHint : 0
; COMPUTE_PGM_RSRC2:SCRATCH_EN: 0
; COMPUTE_PGM_RSRC2:USER_SGPR: 6
; COMPUTE_PGM_RSRC2:TRAP_HANDLER: 0
; COMPUTE_PGM_RSRC2:TGID_X_EN: 1
; COMPUTE_PGM_RSRC2:TGID_Y_EN: 0
; COMPUTE_PGM_RSRC2:TGID_Z_EN: 0
; COMPUTE_PGM_RSRC2:TIDIG_COMP_CNT: 0
	.section	.text._ZN9rocsparseL28internal_extract_fill_kernelILj1024E21rocsparse_complex_numIdEilEEvT2_PKT1_PKS3_PKT0_21rocsparse_index_base_b20rocsparse_diag_type_S6_PS3_PS9_SC_,"axG",@progbits,_ZN9rocsparseL28internal_extract_fill_kernelILj1024E21rocsparse_complex_numIdEilEEvT2_PKT1_PKS3_PKT0_21rocsparse_index_base_b20rocsparse_diag_type_S6_PS3_PS9_SC_,comdat
	.globl	_ZN9rocsparseL28internal_extract_fill_kernelILj1024E21rocsparse_complex_numIdEilEEvT2_PKT1_PKS3_PKT0_21rocsparse_index_base_b20rocsparse_diag_type_S6_PS3_PS9_SC_ ; -- Begin function _ZN9rocsparseL28internal_extract_fill_kernelILj1024E21rocsparse_complex_numIdEilEEvT2_PKT1_PKS3_PKT0_21rocsparse_index_base_b20rocsparse_diag_type_S6_PS3_PS9_SC_
	.p2align	8
	.type	_ZN9rocsparseL28internal_extract_fill_kernelILj1024E21rocsparse_complex_numIdEilEEvT2_PKT1_PKS3_PKT0_21rocsparse_index_base_b20rocsparse_diag_type_S6_PS3_PS9_SC_,@function
_ZN9rocsparseL28internal_extract_fill_kernelILj1024E21rocsparse_complex_numIdEilEEvT2_PKT1_PKS3_PKT0_21rocsparse_index_base_b20rocsparse_diag_type_S6_PS3_PS9_SC_: ; @_ZN9rocsparseL28internal_extract_fill_kernelILj1024E21rocsparse_complex_numIdEilEEvT2_PKT1_PKS3_PKT0_21rocsparse_index_base_b20rocsparse_diag_type_S6_PS3_PS9_SC_
; %bb.0:
	s_load_dword s2, s[4:5], 0x5c
	s_load_dwordx2 s[0:1], s[4:5], 0x0
	s_waitcnt lgkmcnt(0)
	s_and_b32 s2, s2, 0xffff
	s_mul_i32 s6, s6, s2
	v_add_u32_e32 v0, s6, v0
	v_ashrrev_i32_e32 v1, 31, v0
	v_cmp_gt_i64_e32 vcc, s[0:1], v[0:1]
	s_and_saveexec_b64 s[0:1], vcc
	s_cbranch_execz .LBB29_17
; %bb.1:
	s_load_dwordx2 s[0:1], s[4:5], 0x8
	v_lshlrev_b64 v[4:5], 2, v[0:1]
	s_waitcnt lgkmcnt(0)
	v_mov_b32_e32 v3, s1
	v_add_co_u32_e32 v2, vcc, s0, v4
	v_addc_co_u32_e32 v3, vcc, v3, v5, vcc
	global_load_dwordx2 v[2:3], v[2:3], off
	s_waitcnt vmcnt(0)
	v_cmp_lt_i32_e32 vcc, v2, v3
	s_and_b64 exec, exec, vcc
	s_cbranch_execz .LBB29_17
; %bb.2:
	s_load_dwordx4 s[0:3], s[4:5], 0x30
	s_waitcnt lgkmcnt(0)
	v_mov_b32_e32 v6, s1
	v_add_co_u32_e32 v4, vcc, s0, v4
	v_addc_co_u32_e32 v5, vcc, v6, v5, vcc
	global_load_dword v8, v[4:5], off
	s_load_dwordx8 s[8:15], s[4:5], 0x10
	s_load_dwordx2 s[6:7], s[4:5], 0x40
	s_load_dword s18, s[4:5], 0x48
	s_waitcnt lgkmcnt(0)
	v_subrev_u32_e32 v2, s12, v2
	v_subrev_u32_e32 v11, s12, v3
	v_ashrrev_i32_e32 v3, 31, v2
	v_lshlrev_b64 v[4:5], 3, v[2:3]
	s_bitcmp1_b32 s13, 0
	v_mov_b32_e32 v9, s9
	s_cselect_b64 s[0:1], -1, 0
	v_lshlrev_b64 v[6:7], 4, v[2:3]
	v_add_co_u32_e32 v3, vcc, s8, v4
	s_xor_b64 s[4:5], s[0:1], -1
	v_addc_co_u32_e32 v4, vcc, v9, v5, vcc
	v_mov_b32_e32 v10, s11
	s_cmp_lg_u32 s14, 1
	v_add_co_u32_e32 v5, vcc, s10, v6
	s_cselect_b64 s[14:15], -1, 0
	v_addc_co_u32_e32 v6, vcc, v10, v7, vcc
	s_mov_b64 s[8:9], 0
	s_waitcnt vmcnt(0)
	v_subrev_u32_e32 v7, s18, v8
	s_branch .LBB29_4
.LBB29_3:                               ;   in Loop: Header=BB29_4 Depth=1
	s_or_b64 exec, exec, s[0:1]
	v_add_co_u32_e32 v3, vcc, 8, v3
	v_add_u32_e32 v2, 1, v2
	v_addc_co_u32_e32 v4, vcc, 0, v4, vcc
	v_cmp_ge_i32_e32 vcc, v2, v11
	s_or_b64 s[8:9], vcc, s[8:9]
	v_add_co_u32_e32 v5, vcc, 16, v5
	v_addc_co_u32_e32 v6, vcc, 0, v6, vcc
	s_andn2_b64 exec, exec, s[8:9]
	s_cbranch_execz .LBB29_17
.LBB29_4:                               ; =>This Inner Loop Header: Depth=1
	global_load_dwordx2 v[9:10], v[3:4], off
	s_and_b64 vcc, exec, s[4:5]
	s_mov_b64 s[16:17], -1
                                        ; implicit-def: $sgpr10_sgpr11
	s_waitcnt vmcnt(0)
	v_subrev_co_u32_e64 v9, s[0:1], s12, v9
	v_subbrev_co_u32_e64 v10, s[0:1], 0, v10, s[0:1]
	s_cbranch_vccz .LBB29_10
; %bb.5:                                ;   in Loop: Header=BB29_4 Depth=1
	s_mov_b64 s[0:1], -1
	s_and_b64 vcc, exec, s[14:15]
                                        ; implicit-def: $sgpr10_sgpr11
	s_cbranch_vccz .LBB29_7
; %bb.6:                                ;   in Loop: Header=BB29_4 Depth=1
	v_cmp_ge_i64_e64 s[10:11], v[9:10], v[0:1]
	s_mov_b64 s[0:1], 0
.LBB29_7:                               ;   in Loop: Header=BB29_4 Depth=1
	s_andn2_b64 vcc, exec, s[0:1]
	s_cbranch_vccnz .LBB29_9
; %bb.8:                                ;   in Loop: Header=BB29_4 Depth=1
	v_cmp_gt_i64_e32 vcc, v[9:10], v[0:1]
	s_andn2_b64 s[0:1], s[10:11], exec
	s_and_b64 s[10:11], vcc, exec
	s_or_b64 s[10:11], s[0:1], s[10:11]
.LBB29_9:                               ;   in Loop: Header=BB29_4 Depth=1
	s_mov_b64 s[16:17], 0
.LBB29_10:                              ;   in Loop: Header=BB29_4 Depth=1
	s_andn2_b64 vcc, exec, s[16:17]
	s_cbranch_vccnz .LBB29_15
; %bb.11:                               ;   in Loop: Header=BB29_4 Depth=1
	s_mov_b64 s[0:1], -1
	s_and_b64 vcc, exec, s[14:15]
                                        ; implicit-def: $sgpr10_sgpr11
	s_cbranch_vccz .LBB29_13
; %bb.12:                               ;   in Loop: Header=BB29_4 Depth=1
	v_cmp_le_i64_e64 s[10:11], v[9:10], v[0:1]
	s_mov_b64 s[0:1], 0
.LBB29_13:                              ;   in Loop: Header=BB29_4 Depth=1
	s_andn2_b64 vcc, exec, s[0:1]
	s_cbranch_vccnz .LBB29_15
; %bb.14:                               ;   in Loop: Header=BB29_4 Depth=1
	v_cmp_lt_i64_e32 vcc, v[9:10], v[0:1]
	s_andn2_b64 s[0:1], s[10:11], exec
	s_and_b64 s[10:11], vcc, exec
	s_or_b64 s[10:11], s[0:1], s[10:11]
.LBB29_15:                              ;   in Loop: Header=BB29_4 Depth=1
	s_and_saveexec_b64 s[0:1], s[10:11]
	s_cbranch_execz .LBB29_3
; %bb.16:                               ;   in Loop: Header=BB29_4 Depth=1
	global_load_dwordx4 v[12:15], v[5:6], off
	v_ashrrev_i32_e32 v8, 31, v7
	v_add_co_u32_e32 v9, vcc, s18, v9
	v_lshlrev_b64 v[16:17], 4, v[7:8]
	v_addc_co_u32_e32 v10, vcc, 0, v10, vcc
	v_add_u32_e32 v18, 1, v7
	v_mov_b32_e32 v19, s7
	v_lshlrev_b64 v[7:8], 3, v[7:8]
	v_add_co_u32_e32 v16, vcc, s6, v16
	v_addc_co_u32_e32 v17, vcc, v19, v17, vcc
	v_mov_b32_e32 v20, s3
	v_add_co_u32_e32 v7, vcc, s2, v7
	v_addc_co_u32_e32 v8, vcc, v20, v8, vcc
	global_store_dwordx2 v[7:8], v[9:10], off
	s_waitcnt vmcnt(1)
	global_store_dwordx4 v[16:17], v[12:15], off
	v_mov_b32_e32 v7, v18
	s_branch .LBB29_3
.LBB29_17:
	s_endpgm
	.section	.rodata,"a",@progbits
	.p2align	6, 0x0
	.amdhsa_kernel _ZN9rocsparseL28internal_extract_fill_kernelILj1024E21rocsparse_complex_numIdEilEEvT2_PKT1_PKS3_PKT0_21rocsparse_index_base_b20rocsparse_diag_type_S6_PS3_PS9_SC_
		.amdhsa_group_segment_fixed_size 0
		.amdhsa_private_segment_fixed_size 0
		.amdhsa_kernarg_size 336
		.amdhsa_user_sgpr_count 6
		.amdhsa_user_sgpr_private_segment_buffer 1
		.amdhsa_user_sgpr_dispatch_ptr 0
		.amdhsa_user_sgpr_queue_ptr 0
		.amdhsa_user_sgpr_kernarg_segment_ptr 1
		.amdhsa_user_sgpr_dispatch_id 0
		.amdhsa_user_sgpr_flat_scratch_init 0
		.amdhsa_user_sgpr_private_segment_size 0
		.amdhsa_uses_dynamic_stack 0
		.amdhsa_system_sgpr_private_segment_wavefront_offset 0
		.amdhsa_system_sgpr_workgroup_id_x 1
		.amdhsa_system_sgpr_workgroup_id_y 0
		.amdhsa_system_sgpr_workgroup_id_z 0
		.amdhsa_system_sgpr_workgroup_info 0
		.amdhsa_system_vgpr_workitem_id 0
		.amdhsa_next_free_vgpr 21
		.amdhsa_next_free_sgpr 19
		.amdhsa_reserve_vcc 1
		.amdhsa_reserve_flat_scratch 0
		.amdhsa_float_round_mode_32 0
		.amdhsa_float_round_mode_16_64 0
		.amdhsa_float_denorm_mode_32 3
		.amdhsa_float_denorm_mode_16_64 3
		.amdhsa_dx10_clamp 1
		.amdhsa_ieee_mode 1
		.amdhsa_fp16_overflow 0
		.amdhsa_exception_fp_ieee_invalid_op 0
		.amdhsa_exception_fp_denorm_src 0
		.amdhsa_exception_fp_ieee_div_zero 0
		.amdhsa_exception_fp_ieee_overflow 0
		.amdhsa_exception_fp_ieee_underflow 0
		.amdhsa_exception_fp_ieee_inexact 0
		.amdhsa_exception_int_div_zero 0
	.end_amdhsa_kernel
	.section	.text._ZN9rocsparseL28internal_extract_fill_kernelILj1024E21rocsparse_complex_numIdEilEEvT2_PKT1_PKS3_PKT0_21rocsparse_index_base_b20rocsparse_diag_type_S6_PS3_PS9_SC_,"axG",@progbits,_ZN9rocsparseL28internal_extract_fill_kernelILj1024E21rocsparse_complex_numIdEilEEvT2_PKT1_PKS3_PKT0_21rocsparse_index_base_b20rocsparse_diag_type_S6_PS3_PS9_SC_,comdat
.Lfunc_end29:
	.size	_ZN9rocsparseL28internal_extract_fill_kernelILj1024E21rocsparse_complex_numIdEilEEvT2_PKT1_PKS3_PKT0_21rocsparse_index_base_b20rocsparse_diag_type_S6_PS3_PS9_SC_, .Lfunc_end29-_ZN9rocsparseL28internal_extract_fill_kernelILj1024E21rocsparse_complex_numIdEilEEvT2_PKT1_PKS3_PKT0_21rocsparse_index_base_b20rocsparse_diag_type_S6_PS3_PS9_SC_
                                        ; -- End function
	.set _ZN9rocsparseL28internal_extract_fill_kernelILj1024E21rocsparse_complex_numIdEilEEvT2_PKT1_PKS3_PKT0_21rocsparse_index_base_b20rocsparse_diag_type_S6_PS3_PS9_SC_.num_vgpr, 21
	.set _ZN9rocsparseL28internal_extract_fill_kernelILj1024E21rocsparse_complex_numIdEilEEvT2_PKT1_PKS3_PKT0_21rocsparse_index_base_b20rocsparse_diag_type_S6_PS3_PS9_SC_.num_agpr, 0
	.set _ZN9rocsparseL28internal_extract_fill_kernelILj1024E21rocsparse_complex_numIdEilEEvT2_PKT1_PKS3_PKT0_21rocsparse_index_base_b20rocsparse_diag_type_S6_PS3_PS9_SC_.numbered_sgpr, 19
	.set _ZN9rocsparseL28internal_extract_fill_kernelILj1024E21rocsparse_complex_numIdEilEEvT2_PKT1_PKS3_PKT0_21rocsparse_index_base_b20rocsparse_diag_type_S6_PS3_PS9_SC_.num_named_barrier, 0
	.set _ZN9rocsparseL28internal_extract_fill_kernelILj1024E21rocsparse_complex_numIdEilEEvT2_PKT1_PKS3_PKT0_21rocsparse_index_base_b20rocsparse_diag_type_S6_PS3_PS9_SC_.private_seg_size, 0
	.set _ZN9rocsparseL28internal_extract_fill_kernelILj1024E21rocsparse_complex_numIdEilEEvT2_PKT1_PKS3_PKT0_21rocsparse_index_base_b20rocsparse_diag_type_S6_PS3_PS9_SC_.uses_vcc, 1
	.set _ZN9rocsparseL28internal_extract_fill_kernelILj1024E21rocsparse_complex_numIdEilEEvT2_PKT1_PKS3_PKT0_21rocsparse_index_base_b20rocsparse_diag_type_S6_PS3_PS9_SC_.uses_flat_scratch, 0
	.set _ZN9rocsparseL28internal_extract_fill_kernelILj1024E21rocsparse_complex_numIdEilEEvT2_PKT1_PKS3_PKT0_21rocsparse_index_base_b20rocsparse_diag_type_S6_PS3_PS9_SC_.has_dyn_sized_stack, 0
	.set _ZN9rocsparseL28internal_extract_fill_kernelILj1024E21rocsparse_complex_numIdEilEEvT2_PKT1_PKS3_PKT0_21rocsparse_index_base_b20rocsparse_diag_type_S6_PS3_PS9_SC_.has_recursion, 0
	.set _ZN9rocsparseL28internal_extract_fill_kernelILj1024E21rocsparse_complex_numIdEilEEvT2_PKT1_PKS3_PKT0_21rocsparse_index_base_b20rocsparse_diag_type_S6_PS3_PS9_SC_.has_indirect_call, 0
	.section	.AMDGPU.csdata,"",@progbits
; Kernel info:
; codeLenInByte = 548
; TotalNumSgprs: 23
; NumVgprs: 21
; ScratchSize: 0
; MemoryBound: 0
; FloatMode: 240
; IeeeMode: 1
; LDSByteSize: 0 bytes/workgroup (compile time only)
; SGPRBlocks: 2
; VGPRBlocks: 5
; NumSGPRsForWavesPerEU: 23
; NumVGPRsForWavesPerEU: 21
; Occupancy: 10
; WaveLimiterHint : 0
; COMPUTE_PGM_RSRC2:SCRATCH_EN: 0
; COMPUTE_PGM_RSRC2:USER_SGPR: 6
; COMPUTE_PGM_RSRC2:TRAP_HANDLER: 0
; COMPUTE_PGM_RSRC2:TGID_X_EN: 1
; COMPUTE_PGM_RSRC2:TGID_Y_EN: 0
; COMPUTE_PGM_RSRC2:TGID_Z_EN: 0
; COMPUTE_PGM_RSRC2:TIDIG_COMP_CNT: 0
	.section	.text._ZN9rocsparseL28internal_extract_fill_kernelILj1024E21rocsparse_complex_numIdEliEEvT2_PKT1_PKS3_PKT0_21rocsparse_index_base_b20rocsparse_diag_type_S6_PS3_PS9_SC_,"axG",@progbits,_ZN9rocsparseL28internal_extract_fill_kernelILj1024E21rocsparse_complex_numIdEliEEvT2_PKT1_PKS3_PKT0_21rocsparse_index_base_b20rocsparse_diag_type_S6_PS3_PS9_SC_,comdat
	.globl	_ZN9rocsparseL28internal_extract_fill_kernelILj1024E21rocsparse_complex_numIdEliEEvT2_PKT1_PKS3_PKT0_21rocsparse_index_base_b20rocsparse_diag_type_S6_PS3_PS9_SC_ ; -- Begin function _ZN9rocsparseL28internal_extract_fill_kernelILj1024E21rocsparse_complex_numIdEliEEvT2_PKT1_PKS3_PKT0_21rocsparse_index_base_b20rocsparse_diag_type_S6_PS3_PS9_SC_
	.p2align	8
	.type	_ZN9rocsparseL28internal_extract_fill_kernelILj1024E21rocsparse_complex_numIdEliEEvT2_PKT1_PKS3_PKT0_21rocsparse_index_base_b20rocsparse_diag_type_S6_PS3_PS9_SC_,@function
_ZN9rocsparseL28internal_extract_fill_kernelILj1024E21rocsparse_complex_numIdEliEEvT2_PKT1_PKS3_PKT0_21rocsparse_index_base_b20rocsparse_diag_type_S6_PS3_PS9_SC_: ; @_ZN9rocsparseL28internal_extract_fill_kernelILj1024E21rocsparse_complex_numIdEliEEvT2_PKT1_PKS3_PKT0_21rocsparse_index_base_b20rocsparse_diag_type_S6_PS3_PS9_SC_
; %bb.0:
	s_load_dword s0, s[4:5], 0x0
	s_load_dword s2, s[4:5], 0x5c
	v_mov_b32_e32 v5, 0
	s_waitcnt lgkmcnt(0)
	s_ashr_i32 s1, s0, 31
	s_and_b32 s2, s2, 0xffff
	s_mul_i32 s6, s6, s2
	v_add_u32_e32 v4, s6, v0
	v_cmp_gt_i64_e32 vcc, s[0:1], v[4:5]
	s_and_saveexec_b64 s[0:1], vcc
	s_cbranch_execz .LBB30_17
; %bb.1:
	s_load_dwordx2 s[0:1], s[4:5], 0x8
	v_lshlrev_b64 v[5:6], 3, v[4:5]
	s_waitcnt lgkmcnt(0)
	v_mov_b32_e32 v1, s1
	v_add_co_u32_e32 v0, vcc, s0, v5
	v_addc_co_u32_e32 v1, vcc, v1, v6, vcc
	global_load_dwordx4 v[0:3], v[0:1], off
	s_waitcnt vmcnt(0)
	v_cmp_lt_i64_e32 vcc, v[0:1], v[2:3]
	s_and_b64 exec, exec, vcc
	s_cbranch_execz .LBB30_17
; %bb.2:
	s_load_dwordx4 s[0:3], s[4:5], 0x30
	s_waitcnt lgkmcnt(0)
	v_mov_b32_e32 v7, s1
	v_add_co_u32_e32 v5, vcc, s0, v5
	v_addc_co_u32_e32 v6, vcc, v7, v6, vcc
	global_load_dwordx2 v[9:10], v[5:6], off
	s_load_dwordx2 s[6:7], s[4:5], 0x40
	s_load_dwordx8 s[8:15], s[4:5], 0x10
	s_load_dword s16, s[4:5], 0x48
	s_mov_b32 s1, 0
	v_lshlrev_b64 v[5:6], 4, v[0:1]
	v_lshlrev_b64 v[7:8], 2, v[0:1]
	s_waitcnt lgkmcnt(0)
	s_bitcmp1_b32 s13, 0
	v_subrev_co_u32_e32 v2, vcc, s12, v2
	s_cselect_b64 s[4:5], -1, 0
	v_subbrev_co_u32_e32 v3, vcc, 0, v3, vcc
	s_xor_b64 s[4:5], s[4:5], -1
	s_mov_b32 s0, s12
	v_subrev_co_u32_e32 v0, vcc, s12, v0
	s_cmp_lg_u32 s14, 1
	v_subbrev_co_u32_e32 v1, vcc, 0, v1, vcc
	s_cselect_b64 s[14:15], -1, 0
	s_lshl_b64 s[18:19], s[0:1], 4
	v_mov_b32_e32 v13, s19
	v_subrev_co_u32_e32 v5, vcc, s18, v5
	s_lshl_b64 s[0:1], s[0:1], 2
	v_subb_co_u32_e32 v6, vcc, v6, v13, vcc
	v_mov_b32_e32 v14, s1
	v_subrev_co_u32_e32 v7, vcc, s0, v7
	v_subb_co_u32_e32 v8, vcc, v8, v14, vcc
	v_mov_b32_e32 v11, s11
	v_add_co_u32_e32 v5, vcc, s10, v5
	v_addc_co_u32_e32 v6, vcc, v11, v6, vcc
	v_mov_b32_e32 v12, s9
	v_add_co_u32_e32 v7, vcc, s8, v7
	v_addc_co_u32_e32 v8, vcc, v12, v8, vcc
	s_mov_b64 s[8:9], 0
	s_waitcnt vmcnt(0)
	v_subrev_co_u32_e32 v9, vcc, s16, v9
	v_subbrev_co_u32_e32 v10, vcc, 0, v10, vcc
	s_branch .LBB30_4
.LBB30_3:                               ;   in Loop: Header=BB30_4 Depth=1
	s_or_b64 exec, exec, s[10:11]
	v_add_co_u32_e32 v0, vcc, 1, v0
	v_addc_co_u32_e32 v1, vcc, 0, v1, vcc
	v_cmp_ge_i64_e32 vcc, v[0:1], v[2:3]
	v_add_co_u32_e64 v5, s[0:1], 16, v5
	s_or_b64 s[8:9], vcc, s[8:9]
	v_add_co_u32_e32 v7, vcc, 4, v7
	v_addc_co_u32_e64 v6, s[0:1], 0, v6, s[0:1]
	v_addc_co_u32_e32 v8, vcc, 0, v8, vcc
	s_andn2_b64 exec, exec, s[8:9]
	s_cbranch_execz .LBB30_17
.LBB30_4:                               ; =>This Inner Loop Header: Depth=1
	global_load_dword v11, v[7:8], off
	s_and_b64 vcc, exec, s[4:5]
	s_mov_b64 s[10:11], -1
                                        ; implicit-def: $sgpr0_sgpr1
	s_waitcnt vmcnt(0)
	v_subrev_u32_e32 v11, s12, v11
	s_cbranch_vccz .LBB30_10
; %bb.5:                                ;   in Loop: Header=BB30_4 Depth=1
	s_and_b64 vcc, exec, s[14:15]
                                        ; implicit-def: $sgpr0_sgpr1
	s_cbranch_vccz .LBB30_7
; %bb.6:                                ;   in Loop: Header=BB30_4 Depth=1
	v_cmp_le_i32_e64 s[0:1], v4, v11
	s_mov_b64 s[10:11], 0
.LBB30_7:                               ;   in Loop: Header=BB30_4 Depth=1
	s_andn2_b64 vcc, exec, s[10:11]
	s_cbranch_vccnz .LBB30_9
; %bb.8:                                ;   in Loop: Header=BB30_4 Depth=1
	v_cmp_lt_i32_e32 vcc, v4, v11
	s_andn2_b64 s[0:1], s[0:1], exec
	s_and_b64 s[10:11], vcc, exec
	s_or_b64 s[0:1], s[0:1], s[10:11]
.LBB30_9:                               ;   in Loop: Header=BB30_4 Depth=1
	s_mov_b64 s[10:11], 0
.LBB30_10:                              ;   in Loop: Header=BB30_4 Depth=1
	s_andn2_b64 vcc, exec, s[10:11]
	s_cbranch_vccnz .LBB30_15
; %bb.11:                               ;   in Loop: Header=BB30_4 Depth=1
	s_mov_b64 s[10:11], -1
	s_and_b64 vcc, exec, s[14:15]
                                        ; implicit-def: $sgpr0_sgpr1
	s_cbranch_vccz .LBB30_13
; %bb.12:                               ;   in Loop: Header=BB30_4 Depth=1
	v_cmp_ge_i32_e64 s[0:1], v4, v11
	s_mov_b64 s[10:11], 0
.LBB30_13:                              ;   in Loop: Header=BB30_4 Depth=1
	s_andn2_b64 vcc, exec, s[10:11]
	s_cbranch_vccnz .LBB30_15
; %bb.14:                               ;   in Loop: Header=BB30_4 Depth=1
	v_cmp_gt_i32_e32 vcc, v4, v11
	s_andn2_b64 s[0:1], s[0:1], exec
	s_and_b64 s[10:11], vcc, exec
	s_or_b64 s[0:1], s[0:1], s[10:11]
.LBB30_15:                              ;   in Loop: Header=BB30_4 Depth=1
	s_and_saveexec_b64 s[10:11], s[0:1]
	s_cbranch_execz .LBB30_3
; %bb.16:                               ;   in Loop: Header=BB30_4 Depth=1
	global_load_dwordx4 v[12:15], v[5:6], off
	v_add_co_u32_e32 v16, vcc, 1, v9
	v_lshlrev_b64 v[18:19], 4, v[9:10]
	v_addc_co_u32_e32 v17, vcc, 0, v10, vcc
	v_mov_b32_e32 v20, s7
	v_lshlrev_b64 v[9:10], 2, v[9:10]
	v_add_co_u32_e32 v18, vcc, s6, v18
	v_addc_co_u32_e32 v19, vcc, v20, v19, vcc
	v_mov_b32_e32 v21, s3
	v_add_co_u32_e32 v9, vcc, s2, v9
	v_add_u32_e32 v11, s16, v11
	v_addc_co_u32_e32 v10, vcc, v21, v10, vcc
	global_store_dword v[9:10], v11, off
	s_waitcnt vmcnt(1)
	global_store_dwordx4 v[18:19], v[12:15], off
	v_mov_b32_e32 v9, v16
	v_mov_b32_e32 v10, v17
	s_branch .LBB30_3
.LBB30_17:
	s_endpgm
	.section	.rodata,"a",@progbits
	.p2align	6, 0x0
	.amdhsa_kernel _ZN9rocsparseL28internal_extract_fill_kernelILj1024E21rocsparse_complex_numIdEliEEvT2_PKT1_PKS3_PKT0_21rocsparse_index_base_b20rocsparse_diag_type_S6_PS3_PS9_SC_
		.amdhsa_group_segment_fixed_size 0
		.amdhsa_private_segment_fixed_size 0
		.amdhsa_kernarg_size 336
		.amdhsa_user_sgpr_count 6
		.amdhsa_user_sgpr_private_segment_buffer 1
		.amdhsa_user_sgpr_dispatch_ptr 0
		.amdhsa_user_sgpr_queue_ptr 0
		.amdhsa_user_sgpr_kernarg_segment_ptr 1
		.amdhsa_user_sgpr_dispatch_id 0
		.amdhsa_user_sgpr_flat_scratch_init 0
		.amdhsa_user_sgpr_private_segment_size 0
		.amdhsa_uses_dynamic_stack 0
		.amdhsa_system_sgpr_private_segment_wavefront_offset 0
		.amdhsa_system_sgpr_workgroup_id_x 1
		.amdhsa_system_sgpr_workgroup_id_y 0
		.amdhsa_system_sgpr_workgroup_id_z 0
		.amdhsa_system_sgpr_workgroup_info 0
		.amdhsa_system_vgpr_workitem_id 0
		.amdhsa_next_free_vgpr 22
		.amdhsa_next_free_sgpr 20
		.amdhsa_reserve_vcc 1
		.amdhsa_reserve_flat_scratch 0
		.amdhsa_float_round_mode_32 0
		.amdhsa_float_round_mode_16_64 0
		.amdhsa_float_denorm_mode_32 3
		.amdhsa_float_denorm_mode_16_64 3
		.amdhsa_dx10_clamp 1
		.amdhsa_ieee_mode 1
		.amdhsa_fp16_overflow 0
		.amdhsa_exception_fp_ieee_invalid_op 0
		.amdhsa_exception_fp_denorm_src 0
		.amdhsa_exception_fp_ieee_div_zero 0
		.amdhsa_exception_fp_ieee_overflow 0
		.amdhsa_exception_fp_ieee_underflow 0
		.amdhsa_exception_fp_ieee_inexact 0
		.amdhsa_exception_int_div_zero 0
	.end_amdhsa_kernel
	.section	.text._ZN9rocsparseL28internal_extract_fill_kernelILj1024E21rocsparse_complex_numIdEliEEvT2_PKT1_PKS3_PKT0_21rocsparse_index_base_b20rocsparse_diag_type_S6_PS3_PS9_SC_,"axG",@progbits,_ZN9rocsparseL28internal_extract_fill_kernelILj1024E21rocsparse_complex_numIdEliEEvT2_PKT1_PKS3_PKT0_21rocsparse_index_base_b20rocsparse_diag_type_S6_PS3_PS9_SC_,comdat
.Lfunc_end30:
	.size	_ZN9rocsparseL28internal_extract_fill_kernelILj1024E21rocsparse_complex_numIdEliEEvT2_PKT1_PKS3_PKT0_21rocsparse_index_base_b20rocsparse_diag_type_S6_PS3_PS9_SC_, .Lfunc_end30-_ZN9rocsparseL28internal_extract_fill_kernelILj1024E21rocsparse_complex_numIdEliEEvT2_PKT1_PKS3_PKT0_21rocsparse_index_base_b20rocsparse_diag_type_S6_PS3_PS9_SC_
                                        ; -- End function
	.set _ZN9rocsparseL28internal_extract_fill_kernelILj1024E21rocsparse_complex_numIdEliEEvT2_PKT1_PKS3_PKT0_21rocsparse_index_base_b20rocsparse_diag_type_S6_PS3_PS9_SC_.num_vgpr, 22
	.set _ZN9rocsparseL28internal_extract_fill_kernelILj1024E21rocsparse_complex_numIdEliEEvT2_PKT1_PKS3_PKT0_21rocsparse_index_base_b20rocsparse_diag_type_S6_PS3_PS9_SC_.num_agpr, 0
	.set _ZN9rocsparseL28internal_extract_fill_kernelILj1024E21rocsparse_complex_numIdEliEEvT2_PKT1_PKS3_PKT0_21rocsparse_index_base_b20rocsparse_diag_type_S6_PS3_PS9_SC_.numbered_sgpr, 20
	.set _ZN9rocsparseL28internal_extract_fill_kernelILj1024E21rocsparse_complex_numIdEliEEvT2_PKT1_PKS3_PKT0_21rocsparse_index_base_b20rocsparse_diag_type_S6_PS3_PS9_SC_.num_named_barrier, 0
	.set _ZN9rocsparseL28internal_extract_fill_kernelILj1024E21rocsparse_complex_numIdEliEEvT2_PKT1_PKS3_PKT0_21rocsparse_index_base_b20rocsparse_diag_type_S6_PS3_PS9_SC_.private_seg_size, 0
	.set _ZN9rocsparseL28internal_extract_fill_kernelILj1024E21rocsparse_complex_numIdEliEEvT2_PKT1_PKS3_PKT0_21rocsparse_index_base_b20rocsparse_diag_type_S6_PS3_PS9_SC_.uses_vcc, 1
	.set _ZN9rocsparseL28internal_extract_fill_kernelILj1024E21rocsparse_complex_numIdEliEEvT2_PKT1_PKS3_PKT0_21rocsparse_index_base_b20rocsparse_diag_type_S6_PS3_PS9_SC_.uses_flat_scratch, 0
	.set _ZN9rocsparseL28internal_extract_fill_kernelILj1024E21rocsparse_complex_numIdEliEEvT2_PKT1_PKS3_PKT0_21rocsparse_index_base_b20rocsparse_diag_type_S6_PS3_PS9_SC_.has_dyn_sized_stack, 0
	.set _ZN9rocsparseL28internal_extract_fill_kernelILj1024E21rocsparse_complex_numIdEliEEvT2_PKT1_PKS3_PKT0_21rocsparse_index_base_b20rocsparse_diag_type_S6_PS3_PS9_SC_.has_recursion, 0
	.set _ZN9rocsparseL28internal_extract_fill_kernelILj1024E21rocsparse_complex_numIdEliEEvT2_PKT1_PKS3_PKT0_21rocsparse_index_base_b20rocsparse_diag_type_S6_PS3_PS9_SC_.has_indirect_call, 0
	.section	.AMDGPU.csdata,"",@progbits
; Kernel info:
; codeLenInByte = 596
; TotalNumSgprs: 24
; NumVgprs: 22
; ScratchSize: 0
; MemoryBound: 0
; FloatMode: 240
; IeeeMode: 1
; LDSByteSize: 0 bytes/workgroup (compile time only)
; SGPRBlocks: 2
; VGPRBlocks: 5
; NumSGPRsForWavesPerEU: 24
; NumVGPRsForWavesPerEU: 22
; Occupancy: 10
; WaveLimiterHint : 0
; COMPUTE_PGM_RSRC2:SCRATCH_EN: 0
; COMPUTE_PGM_RSRC2:USER_SGPR: 6
; COMPUTE_PGM_RSRC2:TRAP_HANDLER: 0
; COMPUTE_PGM_RSRC2:TGID_X_EN: 1
; COMPUTE_PGM_RSRC2:TGID_Y_EN: 0
; COMPUTE_PGM_RSRC2:TGID_Z_EN: 0
; COMPUTE_PGM_RSRC2:TIDIG_COMP_CNT: 0
	.section	.text._ZN9rocsparseL28internal_extract_fill_kernelILj1024E21rocsparse_complex_numIdEllEEvT2_PKT1_PKS3_PKT0_21rocsparse_index_base_b20rocsparse_diag_type_S6_PS3_PS9_SC_,"axG",@progbits,_ZN9rocsparseL28internal_extract_fill_kernelILj1024E21rocsparse_complex_numIdEllEEvT2_PKT1_PKS3_PKT0_21rocsparse_index_base_b20rocsparse_diag_type_S6_PS3_PS9_SC_,comdat
	.globl	_ZN9rocsparseL28internal_extract_fill_kernelILj1024E21rocsparse_complex_numIdEllEEvT2_PKT1_PKS3_PKT0_21rocsparse_index_base_b20rocsparse_diag_type_S6_PS3_PS9_SC_ ; -- Begin function _ZN9rocsparseL28internal_extract_fill_kernelILj1024E21rocsparse_complex_numIdEllEEvT2_PKT1_PKS3_PKT0_21rocsparse_index_base_b20rocsparse_diag_type_S6_PS3_PS9_SC_
	.p2align	8
	.type	_ZN9rocsparseL28internal_extract_fill_kernelILj1024E21rocsparse_complex_numIdEllEEvT2_PKT1_PKS3_PKT0_21rocsparse_index_base_b20rocsparse_diag_type_S6_PS3_PS9_SC_,@function
_ZN9rocsparseL28internal_extract_fill_kernelILj1024E21rocsparse_complex_numIdEllEEvT2_PKT1_PKS3_PKT0_21rocsparse_index_base_b20rocsparse_diag_type_S6_PS3_PS9_SC_: ; @_ZN9rocsparseL28internal_extract_fill_kernelILj1024E21rocsparse_complex_numIdEllEEvT2_PKT1_PKS3_PKT0_21rocsparse_index_base_b20rocsparse_diag_type_S6_PS3_PS9_SC_
; %bb.0:
	s_load_dword s2, s[4:5], 0x5c
	s_load_dwordx2 s[0:1], s[4:5], 0x0
	v_mov_b32_e32 v5, 0
	s_waitcnt lgkmcnt(0)
	s_and_b32 s2, s2, 0xffff
	s_mul_i32 s6, s6, s2
	v_add_u32_e32 v4, s6, v0
	v_cmp_gt_i64_e32 vcc, s[0:1], v[4:5]
	s_and_saveexec_b64 s[0:1], vcc
	s_cbranch_execz .LBB31_17
; %bb.1:
	s_load_dwordx2 s[0:1], s[4:5], 0x8
	v_lshlrev_b64 v[6:7], 3, v[4:5]
	s_waitcnt lgkmcnt(0)
	v_mov_b32_e32 v1, s1
	v_add_co_u32_e32 v0, vcc, s0, v6
	v_addc_co_u32_e32 v1, vcc, v1, v7, vcc
	global_load_dwordx4 v[0:3], v[0:1], off
	s_waitcnt vmcnt(0)
	v_cmp_lt_i64_e32 vcc, v[0:1], v[2:3]
	s_and_b64 exec, exec, vcc
	s_cbranch_execz .LBB31_17
; %bb.2:
	s_load_dwordx4 s[0:3], s[4:5], 0x30
	s_waitcnt lgkmcnt(0)
	v_mov_b32_e32 v8, s1
	v_add_co_u32_e32 v6, vcc, s0, v6
	v_addc_co_u32_e32 v7, vcc, v8, v7, vcc
	global_load_dwordx2 v[10:11], v[6:7], off
	s_load_dwordx2 s[6:7], s[4:5], 0x40
	s_load_dwordx8 s[8:15], s[4:5], 0x10
	s_load_dword s18, s[4:5], 0x48
	v_lshlrev_b64 v[6:7], 4, v[0:1]
	v_lshlrev_b64 v[8:9], 3, v[0:1]
	s_mov_b32 s5, 0
	s_waitcnt lgkmcnt(0)
	v_subrev_co_u32_e32 v2, vcc, s12, v2
	s_bitcmp1_b32 s13, 0
	v_subbrev_co_u32_e32 v3, vcc, 0, v3, vcc
	s_cselect_b64 s[0:1], -1, 0
	s_mov_b32 s4, s12
	v_subrev_co_u32_e32 v0, vcc, s12, v0
	s_xor_b64 s[12:13], s[0:1], -1
	s_cmp_lg_u32 s14, 1
	v_subbrev_co_u32_e32 v1, vcc, 0, v1, vcc
	s_cselect_b64 s[14:15], -1, 0
	s_lshl_b64 s[0:1], s[4:5], 4
	v_mov_b32_e32 v14, s1
	v_subrev_co_u32_e32 v6, vcc, s0, v6
	s_lshl_b64 s[16:17], s[4:5], 3
	v_subb_co_u32_e32 v7, vcc, v7, v14, vcc
	v_mov_b32_e32 v15, s17
	v_subrev_co_u32_e32 v8, vcc, s16, v8
	v_subb_co_u32_e32 v9, vcc, v9, v15, vcc
	v_mov_b32_e32 v12, s11
	v_add_co_u32_e32 v6, vcc, s10, v6
	v_addc_co_u32_e32 v7, vcc, v12, v7, vcc
	v_mov_b32_e32 v13, s9
	v_add_co_u32_e32 v8, vcc, s8, v8
	v_addc_co_u32_e32 v9, vcc, v13, v9, vcc
	s_mov_b64 s[8:9], 0
	s_waitcnt vmcnt(0)
	v_subrev_co_u32_e32 v10, vcc, s18, v10
	v_subbrev_co_u32_e32 v11, vcc, 0, v11, vcc
	s_branch .LBB31_4
.LBB31_3:                               ;   in Loop: Header=BB31_4 Depth=1
	s_or_b64 exec, exec, s[0:1]
	v_add_co_u32_e32 v0, vcc, 1, v0
	v_addc_co_u32_e32 v1, vcc, 0, v1, vcc
	v_cmp_ge_i64_e32 vcc, v[0:1], v[2:3]
	v_add_co_u32_e64 v6, s[0:1], 16, v6
	s_or_b64 s[8:9], vcc, s[8:9]
	v_add_co_u32_e32 v8, vcc, 8, v8
	v_addc_co_u32_e64 v7, s[0:1], 0, v7, s[0:1]
	v_addc_co_u32_e32 v9, vcc, 0, v9, vcc
	s_andn2_b64 exec, exec, s[8:9]
	s_cbranch_execz .LBB31_17
.LBB31_4:                               ; =>This Inner Loop Header: Depth=1
	global_load_dwordx2 v[12:13], v[8:9], off
	s_and_b64 vcc, exec, s[12:13]
	s_mov_b64 s[16:17], -1
                                        ; implicit-def: $sgpr10_sgpr11
	s_waitcnt vmcnt(0)
	v_subrev_co_u32_e64 v12, s[0:1], s4, v12
	v_subbrev_co_u32_e64 v13, s[0:1], 0, v13, s[0:1]
	s_cbranch_vccz .LBB31_10
; %bb.5:                                ;   in Loop: Header=BB31_4 Depth=1
	s_mov_b64 s[0:1], -1
	s_and_b64 vcc, exec, s[14:15]
                                        ; implicit-def: $sgpr10_sgpr11
	s_cbranch_vccz .LBB31_7
; %bb.6:                                ;   in Loop: Header=BB31_4 Depth=1
	v_cmp_ge_i64_e64 s[10:11], v[12:13], v[4:5]
	s_mov_b64 s[0:1], 0
.LBB31_7:                               ;   in Loop: Header=BB31_4 Depth=1
	s_andn2_b64 vcc, exec, s[0:1]
	s_cbranch_vccnz .LBB31_9
; %bb.8:                                ;   in Loop: Header=BB31_4 Depth=1
	v_cmp_gt_i64_e32 vcc, v[12:13], v[4:5]
	s_andn2_b64 s[0:1], s[10:11], exec
	s_and_b64 s[10:11], vcc, exec
	s_or_b64 s[10:11], s[0:1], s[10:11]
.LBB31_9:                               ;   in Loop: Header=BB31_4 Depth=1
	s_mov_b64 s[16:17], 0
.LBB31_10:                              ;   in Loop: Header=BB31_4 Depth=1
	s_andn2_b64 vcc, exec, s[16:17]
	s_cbranch_vccnz .LBB31_15
; %bb.11:                               ;   in Loop: Header=BB31_4 Depth=1
	s_mov_b64 s[0:1], -1
	s_and_b64 vcc, exec, s[14:15]
                                        ; implicit-def: $sgpr10_sgpr11
	s_cbranch_vccz .LBB31_13
; %bb.12:                               ;   in Loop: Header=BB31_4 Depth=1
	v_cmp_le_i64_e64 s[10:11], v[12:13], v[4:5]
	s_mov_b64 s[0:1], 0
.LBB31_13:                              ;   in Loop: Header=BB31_4 Depth=1
	s_andn2_b64 vcc, exec, s[0:1]
	s_cbranch_vccnz .LBB31_15
; %bb.14:                               ;   in Loop: Header=BB31_4 Depth=1
	v_cmp_lt_i64_e32 vcc, v[12:13], v[4:5]
	s_andn2_b64 s[0:1], s[10:11], exec
	s_and_b64 s[10:11], vcc, exec
	s_or_b64 s[10:11], s[0:1], s[10:11]
.LBB31_15:                              ;   in Loop: Header=BB31_4 Depth=1
	s_and_saveexec_b64 s[0:1], s[10:11]
	s_cbranch_execz .LBB31_3
; %bb.16:                               ;   in Loop: Header=BB31_4 Depth=1
	v_add_co_u32_e32 v14, vcc, 1, v10
	v_lshlrev_b64 v[16:17], 4, v[10:11]
	v_addc_co_u32_e32 v15, vcc, 0, v11, vcc
	v_add_co_u32_e32 v16, vcc, s6, v16
	v_mov_b32_e32 v18, s7
	v_lshlrev_b64 v[10:11], 3, v[10:11]
	v_addc_co_u32_e32 v17, vcc, v18, v17, vcc
	v_add_co_u32_e32 v10, vcc, s2, v10
	v_mov_b32_e32 v18, s3
	v_addc_co_u32_e32 v11, vcc, v18, v11, vcc
	v_add_co_u32_e32 v12, vcc, s18, v12
	v_addc_co_u32_e32 v13, vcc, 0, v13, vcc
	global_store_dwordx2 v[10:11], v[12:13], off
	global_load_dwordx4 v[10:13], v[6:7], off
	s_waitcnt vmcnt(0)
	global_store_dwordx4 v[16:17], v[10:13], off
	s_nop 0
	v_mov_b32_e32 v10, v14
	v_mov_b32_e32 v11, v15
	s_branch .LBB31_3
.LBB31_17:
	s_endpgm
	.section	.rodata,"a",@progbits
	.p2align	6, 0x0
	.amdhsa_kernel _ZN9rocsparseL28internal_extract_fill_kernelILj1024E21rocsparse_complex_numIdEllEEvT2_PKT1_PKS3_PKT0_21rocsparse_index_base_b20rocsparse_diag_type_S6_PS3_PS9_SC_
		.amdhsa_group_segment_fixed_size 0
		.amdhsa_private_segment_fixed_size 0
		.amdhsa_kernarg_size 336
		.amdhsa_user_sgpr_count 6
		.amdhsa_user_sgpr_private_segment_buffer 1
		.amdhsa_user_sgpr_dispatch_ptr 0
		.amdhsa_user_sgpr_queue_ptr 0
		.amdhsa_user_sgpr_kernarg_segment_ptr 1
		.amdhsa_user_sgpr_dispatch_id 0
		.amdhsa_user_sgpr_flat_scratch_init 0
		.amdhsa_user_sgpr_private_segment_size 0
		.amdhsa_uses_dynamic_stack 0
		.amdhsa_system_sgpr_private_segment_wavefront_offset 0
		.amdhsa_system_sgpr_workgroup_id_x 1
		.amdhsa_system_sgpr_workgroup_id_y 0
		.amdhsa_system_sgpr_workgroup_id_z 0
		.amdhsa_system_sgpr_workgroup_info 0
		.amdhsa_system_vgpr_workitem_id 0
		.amdhsa_next_free_vgpr 19
		.amdhsa_next_free_sgpr 19
		.amdhsa_reserve_vcc 1
		.amdhsa_reserve_flat_scratch 0
		.amdhsa_float_round_mode_32 0
		.amdhsa_float_round_mode_16_64 0
		.amdhsa_float_denorm_mode_32 3
		.amdhsa_float_denorm_mode_16_64 3
		.amdhsa_dx10_clamp 1
		.amdhsa_ieee_mode 1
		.amdhsa_fp16_overflow 0
		.amdhsa_exception_fp_ieee_invalid_op 0
		.amdhsa_exception_fp_denorm_src 0
		.amdhsa_exception_fp_ieee_div_zero 0
		.amdhsa_exception_fp_ieee_overflow 0
		.amdhsa_exception_fp_ieee_underflow 0
		.amdhsa_exception_fp_ieee_inexact 0
		.amdhsa_exception_int_div_zero 0
	.end_amdhsa_kernel
	.section	.text._ZN9rocsparseL28internal_extract_fill_kernelILj1024E21rocsparse_complex_numIdEllEEvT2_PKT1_PKS3_PKT0_21rocsparse_index_base_b20rocsparse_diag_type_S6_PS3_PS9_SC_,"axG",@progbits,_ZN9rocsparseL28internal_extract_fill_kernelILj1024E21rocsparse_complex_numIdEllEEvT2_PKT1_PKS3_PKT0_21rocsparse_index_base_b20rocsparse_diag_type_S6_PS3_PS9_SC_,comdat
.Lfunc_end31:
	.size	_ZN9rocsparseL28internal_extract_fill_kernelILj1024E21rocsparse_complex_numIdEllEEvT2_PKT1_PKS3_PKT0_21rocsparse_index_base_b20rocsparse_diag_type_S6_PS3_PS9_SC_, .Lfunc_end31-_ZN9rocsparseL28internal_extract_fill_kernelILj1024E21rocsparse_complex_numIdEllEEvT2_PKT1_PKS3_PKT0_21rocsparse_index_base_b20rocsparse_diag_type_S6_PS3_PS9_SC_
                                        ; -- End function
	.set _ZN9rocsparseL28internal_extract_fill_kernelILj1024E21rocsparse_complex_numIdEllEEvT2_PKT1_PKS3_PKT0_21rocsparse_index_base_b20rocsparse_diag_type_S6_PS3_PS9_SC_.num_vgpr, 19
	.set _ZN9rocsparseL28internal_extract_fill_kernelILj1024E21rocsparse_complex_numIdEllEEvT2_PKT1_PKS3_PKT0_21rocsparse_index_base_b20rocsparse_diag_type_S6_PS3_PS9_SC_.num_agpr, 0
	.set _ZN9rocsparseL28internal_extract_fill_kernelILj1024E21rocsparse_complex_numIdEllEEvT2_PKT1_PKS3_PKT0_21rocsparse_index_base_b20rocsparse_diag_type_S6_PS3_PS9_SC_.numbered_sgpr, 19
	.set _ZN9rocsparseL28internal_extract_fill_kernelILj1024E21rocsparse_complex_numIdEllEEvT2_PKT1_PKS3_PKT0_21rocsparse_index_base_b20rocsparse_diag_type_S6_PS3_PS9_SC_.num_named_barrier, 0
	.set _ZN9rocsparseL28internal_extract_fill_kernelILj1024E21rocsparse_complex_numIdEllEEvT2_PKT1_PKS3_PKT0_21rocsparse_index_base_b20rocsparse_diag_type_S6_PS3_PS9_SC_.private_seg_size, 0
	.set _ZN9rocsparseL28internal_extract_fill_kernelILj1024E21rocsparse_complex_numIdEllEEvT2_PKT1_PKS3_PKT0_21rocsparse_index_base_b20rocsparse_diag_type_S6_PS3_PS9_SC_.uses_vcc, 1
	.set _ZN9rocsparseL28internal_extract_fill_kernelILj1024E21rocsparse_complex_numIdEllEEvT2_PKT1_PKS3_PKT0_21rocsparse_index_base_b20rocsparse_diag_type_S6_PS3_PS9_SC_.uses_flat_scratch, 0
	.set _ZN9rocsparseL28internal_extract_fill_kernelILj1024E21rocsparse_complex_numIdEllEEvT2_PKT1_PKS3_PKT0_21rocsparse_index_base_b20rocsparse_diag_type_S6_PS3_PS9_SC_.has_dyn_sized_stack, 0
	.set _ZN9rocsparseL28internal_extract_fill_kernelILj1024E21rocsparse_complex_numIdEllEEvT2_PKT1_PKS3_PKT0_21rocsparse_index_base_b20rocsparse_diag_type_S6_PS3_PS9_SC_.has_recursion, 0
	.set _ZN9rocsparseL28internal_extract_fill_kernelILj1024E21rocsparse_complex_numIdEllEEvT2_PKT1_PKS3_PKT0_21rocsparse_index_base_b20rocsparse_diag_type_S6_PS3_PS9_SC_.has_indirect_call, 0
	.section	.AMDGPU.csdata,"",@progbits
; Kernel info:
; codeLenInByte = 616
; TotalNumSgprs: 23
; NumVgprs: 19
; ScratchSize: 0
; MemoryBound: 0
; FloatMode: 240
; IeeeMode: 1
; LDSByteSize: 0 bytes/workgroup (compile time only)
; SGPRBlocks: 2
; VGPRBlocks: 4
; NumSGPRsForWavesPerEU: 23
; NumVGPRsForWavesPerEU: 19
; Occupancy: 10
; WaveLimiterHint : 0
; COMPUTE_PGM_RSRC2:SCRATCH_EN: 0
; COMPUTE_PGM_RSRC2:USER_SGPR: 6
; COMPUTE_PGM_RSRC2:TRAP_HANDLER: 0
; COMPUTE_PGM_RSRC2:TGID_X_EN: 1
; COMPUTE_PGM_RSRC2:TGID_Y_EN: 0
; COMPUTE_PGM_RSRC2:TGID_Z_EN: 0
; COMPUTE_PGM_RSRC2:TIDIG_COMP_CNT: 0
	.section	.text._ZN9rocsparseL28internal_extract_fill_kernelILj1024EaiiEEvT2_PKT1_PKS1_PKT0_21rocsparse_index_base_b20rocsparse_diag_type_S4_PS1_PS7_SA_,"axG",@progbits,_ZN9rocsparseL28internal_extract_fill_kernelILj1024EaiiEEvT2_PKT1_PKS1_PKT0_21rocsparse_index_base_b20rocsparse_diag_type_S4_PS1_PS7_SA_,comdat
	.globl	_ZN9rocsparseL28internal_extract_fill_kernelILj1024EaiiEEvT2_PKT1_PKS1_PKT0_21rocsparse_index_base_b20rocsparse_diag_type_S4_PS1_PS7_SA_ ; -- Begin function _ZN9rocsparseL28internal_extract_fill_kernelILj1024EaiiEEvT2_PKT1_PKS1_PKT0_21rocsparse_index_base_b20rocsparse_diag_type_S4_PS1_PS7_SA_
	.p2align	8
	.type	_ZN9rocsparseL28internal_extract_fill_kernelILj1024EaiiEEvT2_PKT1_PKS1_PKT0_21rocsparse_index_base_b20rocsparse_diag_type_S4_PS1_PS7_SA_,@function
_ZN9rocsparseL28internal_extract_fill_kernelILj1024EaiiEEvT2_PKT1_PKS1_PKT0_21rocsparse_index_base_b20rocsparse_diag_type_S4_PS1_PS7_SA_: ; @_ZN9rocsparseL28internal_extract_fill_kernelILj1024EaiiEEvT2_PKT1_PKS1_PKT0_21rocsparse_index_base_b20rocsparse_diag_type_S4_PS1_PS7_SA_
; %bb.0:
	s_load_dword s0, s[4:5], 0x5c
	s_load_dword s1, s[4:5], 0x0
	s_waitcnt lgkmcnt(0)
	s_and_b32 s0, s0, 0xffff
	s_mul_i32 s6, s6, s0
	v_add_u32_e32 v0, s6, v0
	v_cmp_gt_i32_e32 vcc, s1, v0
	s_and_saveexec_b64 s[0:1], vcc
	s_cbranch_execz .LBB32_17
; %bb.1:
	s_load_dwordx2 s[0:1], s[4:5], 0x8
	v_ashrrev_i32_e32 v1, 31, v0
	v_lshlrev_b64 v[3:4], 2, v[0:1]
	s_waitcnt lgkmcnt(0)
	v_mov_b32_e32 v2, s1
	v_add_co_u32_e32 v1, vcc, s0, v3
	v_addc_co_u32_e32 v2, vcc, v2, v4, vcc
	global_load_dwordx2 v[1:2], v[1:2], off
	s_waitcnt vmcnt(0)
	v_cmp_lt_i32_e32 vcc, v1, v2
	s_and_b64 exec, exec, vcc
	s_cbranch_execz .LBB32_17
; %bb.2:
	s_load_dwordx4 s[0:3], s[4:5], 0x30
	s_waitcnt lgkmcnt(0)
	v_mov_b32_e32 v5, s1
	v_add_co_u32_e32 v3, vcc, s0, v3
	v_addc_co_u32_e32 v4, vcc, v5, v4, vcc
	global_load_dword v7, v[3:4], off
	s_load_dwordx8 s[8:15], s[4:5], 0x10
	s_load_dwordx2 s[0:1], s[4:5], 0x40
	s_load_dword s16, s[4:5], 0x48
	s_waitcnt lgkmcnt(0)
	v_subrev_u32_e32 v1, s12, v1
	v_subrev_u32_e32 v9, s12, v2
	s_bitcmp1_b32 s13, 0
	v_ashrrev_i32_e32 v2, 31, v1
	v_mov_b32_e32 v4, s11
	s_cselect_b64 s[4:5], -1, 0
	v_lshlrev_b64 v[5:6], 2, v[1:2]
	v_add_co_u32_e32 v3, vcc, s10, v1
	s_xor_b64 s[4:5], s[4:5], -1
	v_addc_co_u32_e32 v4, vcc, v4, v2, vcc
	v_mov_b32_e32 v8, s9
	s_cmp_lg_u32 s14, 1
	v_add_co_u32_e32 v5, vcc, s8, v5
	s_cselect_b64 s[6:7], -1, 0
	v_addc_co_u32_e32 v6, vcc, v8, v6, vcc
	s_mov_b64 s[8:9], 0
	s_waitcnt vmcnt(0)
	v_subrev_u32_e32 v7, s16, v7
	s_branch .LBB32_4
.LBB32_3:                               ;   in Loop: Header=BB32_4 Depth=1
	s_or_b64 exec, exec, s[14:15]
	v_add_co_u32_e32 v5, vcc, 4, v5
	v_add_u32_e32 v1, 1, v1
	v_addc_co_u32_e32 v6, vcc, 0, v6, vcc
	v_cmp_ge_i32_e32 vcc, v1, v9
	s_or_b64 s[8:9], vcc, s[8:9]
	v_add_co_u32_e32 v3, vcc, 1, v3
	v_addc_co_u32_e32 v4, vcc, 0, v4, vcc
	s_andn2_b64 exec, exec, s[8:9]
	s_cbranch_execz .LBB32_17
.LBB32_4:                               ; =>This Inner Loop Header: Depth=1
	global_load_dword v2, v[5:6], off
	s_and_b64 vcc, exec, s[4:5]
	s_mov_b64 s[14:15], -1
                                        ; implicit-def: $sgpr10_sgpr11
	s_waitcnt vmcnt(0)
	v_subrev_u32_e32 v2, s12, v2
	s_cbranch_vccz .LBB32_10
; %bb.5:                                ;   in Loop: Header=BB32_4 Depth=1
	s_and_b64 vcc, exec, s[6:7]
                                        ; implicit-def: $sgpr10_sgpr11
	s_cbranch_vccz .LBB32_7
; %bb.6:                                ;   in Loop: Header=BB32_4 Depth=1
	v_cmp_le_i32_e64 s[10:11], v0, v2
	s_mov_b64 s[14:15], 0
.LBB32_7:                               ;   in Loop: Header=BB32_4 Depth=1
	s_andn2_b64 vcc, exec, s[14:15]
	s_cbranch_vccnz .LBB32_9
; %bb.8:                                ;   in Loop: Header=BB32_4 Depth=1
	v_cmp_lt_i32_e32 vcc, v0, v2
	s_andn2_b64 s[10:11], s[10:11], exec
	s_and_b64 s[14:15], vcc, exec
	s_or_b64 s[10:11], s[10:11], s[14:15]
.LBB32_9:                               ;   in Loop: Header=BB32_4 Depth=1
	s_mov_b64 s[14:15], 0
.LBB32_10:                              ;   in Loop: Header=BB32_4 Depth=1
	s_andn2_b64 vcc, exec, s[14:15]
	s_cbranch_vccnz .LBB32_15
; %bb.11:                               ;   in Loop: Header=BB32_4 Depth=1
	s_mov_b64 s[14:15], -1
	s_and_b64 vcc, exec, s[6:7]
                                        ; implicit-def: $sgpr10_sgpr11
	s_cbranch_vccz .LBB32_13
; %bb.12:                               ;   in Loop: Header=BB32_4 Depth=1
	v_cmp_ge_i32_e64 s[10:11], v0, v2
	s_mov_b64 s[14:15], 0
.LBB32_13:                              ;   in Loop: Header=BB32_4 Depth=1
	s_andn2_b64 vcc, exec, s[14:15]
	s_cbranch_vccnz .LBB32_15
; %bb.14:                               ;   in Loop: Header=BB32_4 Depth=1
	v_cmp_gt_i32_e32 vcc, v0, v2
	s_andn2_b64 s[10:11], s[10:11], exec
	s_and_b64 s[14:15], vcc, exec
	s_or_b64 s[10:11], s[10:11], s[14:15]
.LBB32_15:                              ;   in Loop: Header=BB32_4 Depth=1
	s_and_saveexec_b64 s[14:15], s[10:11]
	s_cbranch_execz .LBB32_3
; %bb.16:                               ;   in Loop: Header=BB32_4 Depth=1
	global_load_ubyte v12, v[3:4], off
	v_ashrrev_i32_e32 v8, 31, v7
	v_mov_b32_e32 v11, s1
	v_add_co_u32_e32 v10, vcc, s0, v7
	v_add_u32_e32 v13, 1, v7
	v_addc_co_u32_e32 v11, vcc, v11, v8, vcc
	v_lshlrev_b64 v[7:8], 2, v[7:8]
	v_mov_b32_e32 v14, s3
	v_add_co_u32_e32 v7, vcc, s2, v7
	v_add_u32_e32 v2, s16, v2
	v_addc_co_u32_e32 v8, vcc, v14, v8, vcc
	global_store_dword v[7:8], v2, off
	s_waitcnt vmcnt(1)
	global_store_byte v[10:11], v12, off
	v_mov_b32_e32 v7, v13
	s_branch .LBB32_3
.LBB32_17:
	s_endpgm
	.section	.rodata,"a",@progbits
	.p2align	6, 0x0
	.amdhsa_kernel _ZN9rocsparseL28internal_extract_fill_kernelILj1024EaiiEEvT2_PKT1_PKS1_PKT0_21rocsparse_index_base_b20rocsparse_diag_type_S4_PS1_PS7_SA_
		.amdhsa_group_segment_fixed_size 0
		.amdhsa_private_segment_fixed_size 0
		.amdhsa_kernarg_size 336
		.amdhsa_user_sgpr_count 6
		.amdhsa_user_sgpr_private_segment_buffer 1
		.amdhsa_user_sgpr_dispatch_ptr 0
		.amdhsa_user_sgpr_queue_ptr 0
		.amdhsa_user_sgpr_kernarg_segment_ptr 1
		.amdhsa_user_sgpr_dispatch_id 0
		.amdhsa_user_sgpr_flat_scratch_init 0
		.amdhsa_user_sgpr_private_segment_size 0
		.amdhsa_uses_dynamic_stack 0
		.amdhsa_system_sgpr_private_segment_wavefront_offset 0
		.amdhsa_system_sgpr_workgroup_id_x 1
		.amdhsa_system_sgpr_workgroup_id_y 0
		.amdhsa_system_sgpr_workgroup_id_z 0
		.amdhsa_system_sgpr_workgroup_info 0
		.amdhsa_system_vgpr_workitem_id 0
		.amdhsa_next_free_vgpr 15
		.amdhsa_next_free_sgpr 17
		.amdhsa_reserve_vcc 1
		.amdhsa_reserve_flat_scratch 0
		.amdhsa_float_round_mode_32 0
		.amdhsa_float_round_mode_16_64 0
		.amdhsa_float_denorm_mode_32 3
		.amdhsa_float_denorm_mode_16_64 3
		.amdhsa_dx10_clamp 1
		.amdhsa_ieee_mode 1
		.amdhsa_fp16_overflow 0
		.amdhsa_exception_fp_ieee_invalid_op 0
		.amdhsa_exception_fp_denorm_src 0
		.amdhsa_exception_fp_ieee_div_zero 0
		.amdhsa_exception_fp_ieee_overflow 0
		.amdhsa_exception_fp_ieee_underflow 0
		.amdhsa_exception_fp_ieee_inexact 0
		.amdhsa_exception_int_div_zero 0
	.end_amdhsa_kernel
	.section	.text._ZN9rocsparseL28internal_extract_fill_kernelILj1024EaiiEEvT2_PKT1_PKS1_PKT0_21rocsparse_index_base_b20rocsparse_diag_type_S4_PS1_PS7_SA_,"axG",@progbits,_ZN9rocsparseL28internal_extract_fill_kernelILj1024EaiiEEvT2_PKT1_PKS1_PKT0_21rocsparse_index_base_b20rocsparse_diag_type_S4_PS1_PS7_SA_,comdat
.Lfunc_end32:
	.size	_ZN9rocsparseL28internal_extract_fill_kernelILj1024EaiiEEvT2_PKT1_PKS1_PKT0_21rocsparse_index_base_b20rocsparse_diag_type_S4_PS1_PS7_SA_, .Lfunc_end32-_ZN9rocsparseL28internal_extract_fill_kernelILj1024EaiiEEvT2_PKT1_PKS1_PKT0_21rocsparse_index_base_b20rocsparse_diag_type_S4_PS1_PS7_SA_
                                        ; -- End function
	.set _ZN9rocsparseL28internal_extract_fill_kernelILj1024EaiiEEvT2_PKT1_PKS1_PKT0_21rocsparse_index_base_b20rocsparse_diag_type_S4_PS1_PS7_SA_.num_vgpr, 15
	.set _ZN9rocsparseL28internal_extract_fill_kernelILj1024EaiiEEvT2_PKT1_PKS1_PKT0_21rocsparse_index_base_b20rocsparse_diag_type_S4_PS1_PS7_SA_.num_agpr, 0
	.set _ZN9rocsparseL28internal_extract_fill_kernelILj1024EaiiEEvT2_PKT1_PKS1_PKT0_21rocsparse_index_base_b20rocsparse_diag_type_S4_PS1_PS7_SA_.numbered_sgpr, 17
	.set _ZN9rocsparseL28internal_extract_fill_kernelILj1024EaiiEEvT2_PKT1_PKS1_PKT0_21rocsparse_index_base_b20rocsparse_diag_type_S4_PS1_PS7_SA_.num_named_barrier, 0
	.set _ZN9rocsparseL28internal_extract_fill_kernelILj1024EaiiEEvT2_PKT1_PKS1_PKT0_21rocsparse_index_base_b20rocsparse_diag_type_S4_PS1_PS7_SA_.private_seg_size, 0
	.set _ZN9rocsparseL28internal_extract_fill_kernelILj1024EaiiEEvT2_PKT1_PKS1_PKT0_21rocsparse_index_base_b20rocsparse_diag_type_S4_PS1_PS7_SA_.uses_vcc, 1
	.set _ZN9rocsparseL28internal_extract_fill_kernelILj1024EaiiEEvT2_PKT1_PKS1_PKT0_21rocsparse_index_base_b20rocsparse_diag_type_S4_PS1_PS7_SA_.uses_flat_scratch, 0
	.set _ZN9rocsparseL28internal_extract_fill_kernelILj1024EaiiEEvT2_PKT1_PKS1_PKT0_21rocsparse_index_base_b20rocsparse_diag_type_S4_PS1_PS7_SA_.has_dyn_sized_stack, 0
	.set _ZN9rocsparseL28internal_extract_fill_kernelILj1024EaiiEEvT2_PKT1_PKS1_PKT0_21rocsparse_index_base_b20rocsparse_diag_type_S4_PS1_PS7_SA_.has_recursion, 0
	.set _ZN9rocsparseL28internal_extract_fill_kernelILj1024EaiiEEvT2_PKT1_PKS1_PKT0_21rocsparse_index_base_b20rocsparse_diag_type_S4_PS1_PS7_SA_.has_indirect_call, 0
	.section	.AMDGPU.csdata,"",@progbits
; Kernel info:
; codeLenInByte = 512
; TotalNumSgprs: 21
; NumVgprs: 15
; ScratchSize: 0
; MemoryBound: 0
; FloatMode: 240
; IeeeMode: 1
; LDSByteSize: 0 bytes/workgroup (compile time only)
; SGPRBlocks: 2
; VGPRBlocks: 3
; NumSGPRsForWavesPerEU: 21
; NumVGPRsForWavesPerEU: 15
; Occupancy: 10
; WaveLimiterHint : 0
; COMPUTE_PGM_RSRC2:SCRATCH_EN: 0
; COMPUTE_PGM_RSRC2:USER_SGPR: 6
; COMPUTE_PGM_RSRC2:TRAP_HANDLER: 0
; COMPUTE_PGM_RSRC2:TGID_X_EN: 1
; COMPUTE_PGM_RSRC2:TGID_Y_EN: 0
; COMPUTE_PGM_RSRC2:TGID_Z_EN: 0
; COMPUTE_PGM_RSRC2:TIDIG_COMP_CNT: 0
	.section	.text._ZN9rocsparseL28internal_extract_fill_kernelILj1024EailEEvT2_PKT1_PKS1_PKT0_21rocsparse_index_base_b20rocsparse_diag_type_S4_PS1_PS7_SA_,"axG",@progbits,_ZN9rocsparseL28internal_extract_fill_kernelILj1024EailEEvT2_PKT1_PKS1_PKT0_21rocsparse_index_base_b20rocsparse_diag_type_S4_PS1_PS7_SA_,comdat
	.globl	_ZN9rocsparseL28internal_extract_fill_kernelILj1024EailEEvT2_PKT1_PKS1_PKT0_21rocsparse_index_base_b20rocsparse_diag_type_S4_PS1_PS7_SA_ ; -- Begin function _ZN9rocsparseL28internal_extract_fill_kernelILj1024EailEEvT2_PKT1_PKS1_PKT0_21rocsparse_index_base_b20rocsparse_diag_type_S4_PS1_PS7_SA_
	.p2align	8
	.type	_ZN9rocsparseL28internal_extract_fill_kernelILj1024EailEEvT2_PKT1_PKS1_PKT0_21rocsparse_index_base_b20rocsparse_diag_type_S4_PS1_PS7_SA_,@function
_ZN9rocsparseL28internal_extract_fill_kernelILj1024EailEEvT2_PKT1_PKS1_PKT0_21rocsparse_index_base_b20rocsparse_diag_type_S4_PS1_PS7_SA_: ; @_ZN9rocsparseL28internal_extract_fill_kernelILj1024EailEEvT2_PKT1_PKS1_PKT0_21rocsparse_index_base_b20rocsparse_diag_type_S4_PS1_PS7_SA_
; %bb.0:
	s_load_dword s2, s[4:5], 0x5c
	s_load_dwordx2 s[0:1], s[4:5], 0x0
	s_waitcnt lgkmcnt(0)
	s_and_b32 s2, s2, 0xffff
	s_mul_i32 s6, s6, s2
	v_add_u32_e32 v0, s6, v0
	v_ashrrev_i32_e32 v1, 31, v0
	v_cmp_gt_i64_e32 vcc, s[0:1], v[0:1]
	s_and_saveexec_b64 s[0:1], vcc
	s_cbranch_execz .LBB33_17
; %bb.1:
	s_load_dwordx2 s[0:1], s[4:5], 0x8
	v_lshlrev_b64 v[4:5], 2, v[0:1]
	s_waitcnt lgkmcnt(0)
	v_mov_b32_e32 v3, s1
	v_add_co_u32_e32 v2, vcc, s0, v4
	v_addc_co_u32_e32 v3, vcc, v3, v5, vcc
	global_load_dwordx2 v[2:3], v[2:3], off
	s_waitcnt vmcnt(0)
	v_cmp_lt_i32_e32 vcc, v2, v3
	s_and_b64 exec, exec, vcc
	s_cbranch_execz .LBB33_17
; %bb.2:
	s_load_dwordx4 s[0:3], s[4:5], 0x30
	s_waitcnt lgkmcnt(0)
	v_mov_b32_e32 v6, s1
	v_add_co_u32_e32 v4, vcc, s0, v4
	v_addc_co_u32_e32 v5, vcc, v6, v5, vcc
	global_load_dword v8, v[4:5], off
	s_load_dwordx8 s[8:15], s[4:5], 0x10
	s_load_dwordx2 s[6:7], s[4:5], 0x40
	s_load_dword s18, s[4:5], 0x48
	s_waitcnt lgkmcnt(0)
	v_subrev_u32_e32 v2, s12, v2
	v_subrev_u32_e32 v12, s12, v3
	s_bitcmp1_b32 s13, 0
	v_ashrrev_i32_e32 v3, 31, v2
	v_mov_b32_e32 v5, s11
	s_cselect_b64 s[0:1], -1, 0
	v_lshlrev_b64 v[6:7], 3, v[2:3]
	v_add_co_u32_e32 v4, vcc, s10, v2
	s_xor_b64 s[4:5], s[0:1], -1
	v_addc_co_u32_e32 v5, vcc, v5, v3, vcc
	v_mov_b32_e32 v9, s9
	s_cmp_lg_u32 s14, 1
	v_add_co_u32_e32 v6, vcc, s8, v6
	s_cselect_b64 s[10:11], -1, 0
	v_addc_co_u32_e32 v7, vcc, v9, v7, vcc
	s_mov_b64 s[8:9], 0
	s_waitcnt vmcnt(0)
	v_subrev_u32_e32 v8, s18, v8
	s_branch .LBB33_4
.LBB33_3:                               ;   in Loop: Header=BB33_4 Depth=1
	s_or_b64 exec, exec, s[0:1]
	v_add_co_u32_e32 v6, vcc, 8, v6
	v_add_u32_e32 v2, 1, v2
	v_addc_co_u32_e32 v7, vcc, 0, v7, vcc
	v_cmp_ge_i32_e32 vcc, v2, v12
	s_or_b64 s[8:9], vcc, s[8:9]
	v_add_co_u32_e32 v4, vcc, 1, v4
	v_addc_co_u32_e32 v5, vcc, 0, v5, vcc
	s_andn2_b64 exec, exec, s[8:9]
	s_cbranch_execz .LBB33_17
.LBB33_4:                               ; =>This Inner Loop Header: Depth=1
	global_load_dwordx2 v[10:11], v[6:7], off
	s_and_b64 vcc, exec, s[4:5]
	s_mov_b64 s[16:17], -1
                                        ; implicit-def: $sgpr14_sgpr15
	s_waitcnt vmcnt(0)
	v_subrev_co_u32_e64 v10, s[0:1], s12, v10
	v_subbrev_co_u32_e64 v11, s[0:1], 0, v11, s[0:1]
	s_cbranch_vccz .LBB33_10
; %bb.5:                                ;   in Loop: Header=BB33_4 Depth=1
	s_mov_b64 s[0:1], -1
	s_and_b64 vcc, exec, s[10:11]
                                        ; implicit-def: $sgpr14_sgpr15
	s_cbranch_vccz .LBB33_7
; %bb.6:                                ;   in Loop: Header=BB33_4 Depth=1
	v_cmp_ge_i64_e64 s[14:15], v[10:11], v[0:1]
	s_mov_b64 s[0:1], 0
.LBB33_7:                               ;   in Loop: Header=BB33_4 Depth=1
	s_andn2_b64 vcc, exec, s[0:1]
	s_cbranch_vccnz .LBB33_9
; %bb.8:                                ;   in Loop: Header=BB33_4 Depth=1
	v_cmp_gt_i64_e32 vcc, v[10:11], v[0:1]
	s_andn2_b64 s[0:1], s[14:15], exec
	s_and_b64 s[14:15], vcc, exec
	s_or_b64 s[14:15], s[0:1], s[14:15]
.LBB33_9:                               ;   in Loop: Header=BB33_4 Depth=1
	s_mov_b64 s[16:17], 0
.LBB33_10:                              ;   in Loop: Header=BB33_4 Depth=1
	s_andn2_b64 vcc, exec, s[16:17]
	s_cbranch_vccnz .LBB33_15
; %bb.11:                               ;   in Loop: Header=BB33_4 Depth=1
	s_mov_b64 s[0:1], -1
	s_and_b64 vcc, exec, s[10:11]
                                        ; implicit-def: $sgpr14_sgpr15
	s_cbranch_vccz .LBB33_13
; %bb.12:                               ;   in Loop: Header=BB33_4 Depth=1
	v_cmp_le_i64_e64 s[14:15], v[10:11], v[0:1]
	s_mov_b64 s[0:1], 0
.LBB33_13:                              ;   in Loop: Header=BB33_4 Depth=1
	s_andn2_b64 vcc, exec, s[0:1]
	s_cbranch_vccnz .LBB33_15
; %bb.14:                               ;   in Loop: Header=BB33_4 Depth=1
	v_cmp_lt_i64_e32 vcc, v[10:11], v[0:1]
	s_andn2_b64 s[0:1], s[14:15], exec
	s_and_b64 s[14:15], vcc, exec
	s_or_b64 s[14:15], s[0:1], s[14:15]
.LBB33_15:                              ;   in Loop: Header=BB33_4 Depth=1
	s_and_saveexec_b64 s[0:1], s[14:15]
	s_cbranch_execz .LBB33_3
; %bb.16:                               ;   in Loop: Header=BB33_4 Depth=1
	global_load_ubyte v3, v[4:5], off
	v_add_co_u32_e32 v10, vcc, s18, v10
	v_addc_co_u32_e32 v11, vcc, 0, v11, vcc
	v_ashrrev_i32_e32 v9, 31, v8
	v_mov_b32_e32 v14, s7
	v_add_co_u32_e32 v13, vcc, s6, v8
	v_add_u32_e32 v15, 1, v8
	v_addc_co_u32_e32 v14, vcc, v14, v9, vcc
	v_lshlrev_b64 v[8:9], 3, v[8:9]
	v_mov_b32_e32 v16, s3
	v_add_co_u32_e32 v8, vcc, s2, v8
	v_addc_co_u32_e32 v9, vcc, v16, v9, vcc
	global_store_dwordx2 v[8:9], v[10:11], off
	s_waitcnt vmcnt(1)
	global_store_byte v[13:14], v3, off
	v_mov_b32_e32 v8, v15
	s_branch .LBB33_3
.LBB33_17:
	s_endpgm
	.section	.rodata,"a",@progbits
	.p2align	6, 0x0
	.amdhsa_kernel _ZN9rocsparseL28internal_extract_fill_kernelILj1024EailEEvT2_PKT1_PKS1_PKT0_21rocsparse_index_base_b20rocsparse_diag_type_S4_PS1_PS7_SA_
		.amdhsa_group_segment_fixed_size 0
		.amdhsa_private_segment_fixed_size 0
		.amdhsa_kernarg_size 336
		.amdhsa_user_sgpr_count 6
		.amdhsa_user_sgpr_private_segment_buffer 1
		.amdhsa_user_sgpr_dispatch_ptr 0
		.amdhsa_user_sgpr_queue_ptr 0
		.amdhsa_user_sgpr_kernarg_segment_ptr 1
		.amdhsa_user_sgpr_dispatch_id 0
		.amdhsa_user_sgpr_flat_scratch_init 0
		.amdhsa_user_sgpr_private_segment_size 0
		.amdhsa_uses_dynamic_stack 0
		.amdhsa_system_sgpr_private_segment_wavefront_offset 0
		.amdhsa_system_sgpr_workgroup_id_x 1
		.amdhsa_system_sgpr_workgroup_id_y 0
		.amdhsa_system_sgpr_workgroup_id_z 0
		.amdhsa_system_sgpr_workgroup_info 0
		.amdhsa_system_vgpr_workitem_id 0
		.amdhsa_next_free_vgpr 17
		.amdhsa_next_free_sgpr 19
		.amdhsa_reserve_vcc 1
		.amdhsa_reserve_flat_scratch 0
		.amdhsa_float_round_mode_32 0
		.amdhsa_float_round_mode_16_64 0
		.amdhsa_float_denorm_mode_32 3
		.amdhsa_float_denorm_mode_16_64 3
		.amdhsa_dx10_clamp 1
		.amdhsa_ieee_mode 1
		.amdhsa_fp16_overflow 0
		.amdhsa_exception_fp_ieee_invalid_op 0
		.amdhsa_exception_fp_denorm_src 0
		.amdhsa_exception_fp_ieee_div_zero 0
		.amdhsa_exception_fp_ieee_overflow 0
		.amdhsa_exception_fp_ieee_underflow 0
		.amdhsa_exception_fp_ieee_inexact 0
		.amdhsa_exception_int_div_zero 0
	.end_amdhsa_kernel
	.section	.text._ZN9rocsparseL28internal_extract_fill_kernelILj1024EailEEvT2_PKT1_PKS1_PKT0_21rocsparse_index_base_b20rocsparse_diag_type_S4_PS1_PS7_SA_,"axG",@progbits,_ZN9rocsparseL28internal_extract_fill_kernelILj1024EailEEvT2_PKT1_PKS1_PKT0_21rocsparse_index_base_b20rocsparse_diag_type_S4_PS1_PS7_SA_,comdat
.Lfunc_end33:
	.size	_ZN9rocsparseL28internal_extract_fill_kernelILj1024EailEEvT2_PKT1_PKS1_PKT0_21rocsparse_index_base_b20rocsparse_diag_type_S4_PS1_PS7_SA_, .Lfunc_end33-_ZN9rocsparseL28internal_extract_fill_kernelILj1024EailEEvT2_PKT1_PKS1_PKT0_21rocsparse_index_base_b20rocsparse_diag_type_S4_PS1_PS7_SA_
                                        ; -- End function
	.set _ZN9rocsparseL28internal_extract_fill_kernelILj1024EailEEvT2_PKT1_PKS1_PKT0_21rocsparse_index_base_b20rocsparse_diag_type_S4_PS1_PS7_SA_.num_vgpr, 17
	.set _ZN9rocsparseL28internal_extract_fill_kernelILj1024EailEEvT2_PKT1_PKS1_PKT0_21rocsparse_index_base_b20rocsparse_diag_type_S4_PS1_PS7_SA_.num_agpr, 0
	.set _ZN9rocsparseL28internal_extract_fill_kernelILj1024EailEEvT2_PKT1_PKS1_PKT0_21rocsparse_index_base_b20rocsparse_diag_type_S4_PS1_PS7_SA_.numbered_sgpr, 19
	.set _ZN9rocsparseL28internal_extract_fill_kernelILj1024EailEEvT2_PKT1_PKS1_PKT0_21rocsparse_index_base_b20rocsparse_diag_type_S4_PS1_PS7_SA_.num_named_barrier, 0
	.set _ZN9rocsparseL28internal_extract_fill_kernelILj1024EailEEvT2_PKT1_PKS1_PKT0_21rocsparse_index_base_b20rocsparse_diag_type_S4_PS1_PS7_SA_.private_seg_size, 0
	.set _ZN9rocsparseL28internal_extract_fill_kernelILj1024EailEEvT2_PKT1_PKS1_PKT0_21rocsparse_index_base_b20rocsparse_diag_type_S4_PS1_PS7_SA_.uses_vcc, 1
	.set _ZN9rocsparseL28internal_extract_fill_kernelILj1024EailEEvT2_PKT1_PKS1_PKT0_21rocsparse_index_base_b20rocsparse_diag_type_S4_PS1_PS7_SA_.uses_flat_scratch, 0
	.set _ZN9rocsparseL28internal_extract_fill_kernelILj1024EailEEvT2_PKT1_PKS1_PKT0_21rocsparse_index_base_b20rocsparse_diag_type_S4_PS1_PS7_SA_.has_dyn_sized_stack, 0
	.set _ZN9rocsparseL28internal_extract_fill_kernelILj1024EailEEvT2_PKT1_PKS1_PKT0_21rocsparse_index_base_b20rocsparse_diag_type_S4_PS1_PS7_SA_.has_recursion, 0
	.set _ZN9rocsparseL28internal_extract_fill_kernelILj1024EailEEvT2_PKT1_PKS1_PKT0_21rocsparse_index_base_b20rocsparse_diag_type_S4_PS1_PS7_SA_.has_indirect_call, 0
	.section	.AMDGPU.csdata,"",@progbits
; Kernel info:
; codeLenInByte = 532
; TotalNumSgprs: 23
; NumVgprs: 17
; ScratchSize: 0
; MemoryBound: 0
; FloatMode: 240
; IeeeMode: 1
; LDSByteSize: 0 bytes/workgroup (compile time only)
; SGPRBlocks: 2
; VGPRBlocks: 4
; NumSGPRsForWavesPerEU: 23
; NumVGPRsForWavesPerEU: 17
; Occupancy: 10
; WaveLimiterHint : 0
; COMPUTE_PGM_RSRC2:SCRATCH_EN: 0
; COMPUTE_PGM_RSRC2:USER_SGPR: 6
; COMPUTE_PGM_RSRC2:TRAP_HANDLER: 0
; COMPUTE_PGM_RSRC2:TGID_X_EN: 1
; COMPUTE_PGM_RSRC2:TGID_Y_EN: 0
; COMPUTE_PGM_RSRC2:TGID_Z_EN: 0
; COMPUTE_PGM_RSRC2:TIDIG_COMP_CNT: 0
	.section	.text._ZN9rocsparseL28internal_extract_fill_kernelILj1024EaliEEvT2_PKT1_PKS1_PKT0_21rocsparse_index_base_b20rocsparse_diag_type_S4_PS1_PS7_SA_,"axG",@progbits,_ZN9rocsparseL28internal_extract_fill_kernelILj1024EaliEEvT2_PKT1_PKS1_PKT0_21rocsparse_index_base_b20rocsparse_diag_type_S4_PS1_PS7_SA_,comdat
	.globl	_ZN9rocsparseL28internal_extract_fill_kernelILj1024EaliEEvT2_PKT1_PKS1_PKT0_21rocsparse_index_base_b20rocsparse_diag_type_S4_PS1_PS7_SA_ ; -- Begin function _ZN9rocsparseL28internal_extract_fill_kernelILj1024EaliEEvT2_PKT1_PKS1_PKT0_21rocsparse_index_base_b20rocsparse_diag_type_S4_PS1_PS7_SA_
	.p2align	8
	.type	_ZN9rocsparseL28internal_extract_fill_kernelILj1024EaliEEvT2_PKT1_PKS1_PKT0_21rocsparse_index_base_b20rocsparse_diag_type_S4_PS1_PS7_SA_,@function
_ZN9rocsparseL28internal_extract_fill_kernelILj1024EaliEEvT2_PKT1_PKS1_PKT0_21rocsparse_index_base_b20rocsparse_diag_type_S4_PS1_PS7_SA_: ; @_ZN9rocsparseL28internal_extract_fill_kernelILj1024EaliEEvT2_PKT1_PKS1_PKT0_21rocsparse_index_base_b20rocsparse_diag_type_S4_PS1_PS7_SA_
; %bb.0:
	s_load_dword s0, s[4:5], 0x0
	s_load_dword s2, s[4:5], 0x5c
	v_mov_b32_e32 v5, 0
	s_waitcnt lgkmcnt(0)
	s_ashr_i32 s1, s0, 31
	s_and_b32 s2, s2, 0xffff
	s_mul_i32 s6, s6, s2
	v_add_u32_e32 v4, s6, v0
	v_cmp_gt_i64_e32 vcc, s[0:1], v[4:5]
	s_and_saveexec_b64 s[0:1], vcc
	s_cbranch_execz .LBB34_17
; %bb.1:
	s_load_dwordx2 s[0:1], s[4:5], 0x8
	v_lshlrev_b64 v[5:6], 3, v[4:5]
	s_waitcnt lgkmcnt(0)
	v_mov_b32_e32 v1, s1
	v_add_co_u32_e32 v0, vcc, s0, v5
	v_addc_co_u32_e32 v1, vcc, v1, v6, vcc
	global_load_dwordx4 v[0:3], v[0:1], off
	s_waitcnt vmcnt(0)
	v_cmp_lt_i64_e32 vcc, v[0:1], v[2:3]
	s_and_b64 exec, exec, vcc
	s_cbranch_execz .LBB34_17
; %bb.2:
	s_load_dwordx4 s[0:3], s[4:5], 0x30
	s_mov_b32 s17, 0
	s_waitcnt lgkmcnt(0)
	v_mov_b32_e32 v7, s1
	v_add_co_u32_e32 v5, vcc, s0, v5
	v_addc_co_u32_e32 v6, vcc, v7, v6, vcc
	global_load_dwordx2 v[7:8], v[5:6], off
	s_load_dwordx8 s[8:15], s[4:5], 0x10
	s_load_dwordx2 s[0:1], s[4:5], 0x40
	s_load_dword s18, s[4:5], 0x48
	v_lshlrev_b64 v[5:6], 2, v[0:1]
	s_waitcnt lgkmcnt(0)
	s_bitcmp1_b32 s13, 0
	v_subrev_co_u32_e32 v2, vcc, s12, v2
	s_cselect_b64 s[4:5], -1, 0
	v_subbrev_co_u32_e32 v3, vcc, 0, v3, vcc
	s_xor_b64 s[4:5], s[4:5], -1
	s_mov_b32 s16, s12
	v_subrev_co_u32_e32 v0, vcc, s12, v0
	s_cmp_lg_u32 s14, 1
	v_subbrev_co_u32_e32 v1, vcc, 0, v1, vcc
	s_cselect_b64 s[6:7], -1, 0
	s_lshl_b64 s[14:15], s[16:17], 2
	v_mov_b32_e32 v10, s15
	v_subrev_co_u32_e32 v5, vcc, s14, v5
	v_subb_co_u32_e32 v6, vcc, v6, v10, vcc
	v_mov_b32_e32 v9, s9
	v_add_co_u32_e32 v5, vcc, s8, v5
	v_addc_co_u32_e32 v6, vcc, v9, v6, vcc
	s_mov_b64 s[8:9], 0
	s_waitcnt vmcnt(0)
	v_subrev_co_u32_e32 v7, vcc, s18, v7
	v_subbrev_co_u32_e32 v8, vcc, 0, v8, vcc
	s_branch .LBB34_4
.LBB34_3:                               ;   in Loop: Header=BB34_4 Depth=1
	s_or_b64 exec, exec, s[16:17]
	v_add_co_u32_e32 v0, vcc, 1, v0
	v_addc_co_u32_e32 v1, vcc, 0, v1, vcc
	v_cmp_ge_i64_e32 vcc, v[0:1], v[2:3]
	s_or_b64 s[8:9], vcc, s[8:9]
	v_add_co_u32_e32 v5, vcc, 4, v5
	v_addc_co_u32_e32 v6, vcc, 0, v6, vcc
	s_andn2_b64 exec, exec, s[8:9]
	s_cbranch_execz .LBB34_17
.LBB34_4:                               ; =>This Inner Loop Header: Depth=1
	global_load_dword v9, v[5:6], off
	s_and_b64 vcc, exec, s[4:5]
	s_mov_b64 s[16:17], -1
                                        ; implicit-def: $sgpr14_sgpr15
	s_waitcnt vmcnt(0)
	v_subrev_u32_e32 v9, s12, v9
	s_cbranch_vccz .LBB34_10
; %bb.5:                                ;   in Loop: Header=BB34_4 Depth=1
	s_and_b64 vcc, exec, s[6:7]
                                        ; implicit-def: $sgpr14_sgpr15
	s_cbranch_vccz .LBB34_7
; %bb.6:                                ;   in Loop: Header=BB34_4 Depth=1
	v_cmp_le_i32_e64 s[14:15], v4, v9
	s_mov_b64 s[16:17], 0
.LBB34_7:                               ;   in Loop: Header=BB34_4 Depth=1
	s_andn2_b64 vcc, exec, s[16:17]
	s_cbranch_vccnz .LBB34_9
; %bb.8:                                ;   in Loop: Header=BB34_4 Depth=1
	v_cmp_lt_i32_e32 vcc, v4, v9
	s_andn2_b64 s[14:15], s[14:15], exec
	s_and_b64 s[16:17], vcc, exec
	s_or_b64 s[14:15], s[14:15], s[16:17]
.LBB34_9:                               ;   in Loop: Header=BB34_4 Depth=1
	s_mov_b64 s[16:17], 0
.LBB34_10:                              ;   in Loop: Header=BB34_4 Depth=1
	s_andn2_b64 vcc, exec, s[16:17]
	s_cbranch_vccnz .LBB34_15
; %bb.11:                               ;   in Loop: Header=BB34_4 Depth=1
	s_mov_b64 s[16:17], -1
	s_and_b64 vcc, exec, s[6:7]
                                        ; implicit-def: $sgpr14_sgpr15
	s_cbranch_vccz .LBB34_13
; %bb.12:                               ;   in Loop: Header=BB34_4 Depth=1
	v_cmp_ge_i32_e64 s[14:15], v4, v9
	s_mov_b64 s[16:17], 0
.LBB34_13:                              ;   in Loop: Header=BB34_4 Depth=1
	s_andn2_b64 vcc, exec, s[16:17]
	s_cbranch_vccnz .LBB34_15
; %bb.14:                               ;   in Loop: Header=BB34_4 Depth=1
	v_cmp_gt_i32_e32 vcc, v4, v9
	s_andn2_b64 s[14:15], s[14:15], exec
	s_and_b64 s[16:17], vcc, exec
	s_or_b64 s[14:15], s[14:15], s[16:17]
.LBB34_15:                              ;   in Loop: Header=BB34_4 Depth=1
	s_and_saveexec_b64 s[16:17], s[14:15]
	s_cbranch_execz .LBB34_3
; %bb.16:                               ;   in Loop: Header=BB34_4 Depth=1
	v_mov_b32_e32 v11, s11
	v_add_co_u32_e32 v10, vcc, s10, v0
	v_addc_co_u32_e32 v11, vcc, v11, v1, vcc
	global_load_ubyte v14, v[10:11], off
	v_add_co_u32_e32 v10, vcc, 1, v7
	v_addc_co_u32_e32 v11, vcc, 0, v8, vcc
	v_mov_b32_e32 v15, s1
	v_lshlrev_b64 v[12:13], 2, v[7:8]
	v_add_co_u32_e32 v7, vcc, s0, v7
	v_addc_co_u32_e32 v8, vcc, v15, v8, vcc
	v_mov_b32_e32 v16, s3
	v_add_co_u32_e32 v12, vcc, s2, v12
	v_add_u32_e32 v9, s18, v9
	v_addc_co_u32_e32 v13, vcc, v16, v13, vcc
	global_store_dword v[12:13], v9, off
	s_waitcnt vmcnt(1)
	global_store_byte v[7:8], v14, off
	v_mov_b32_e32 v7, v10
	v_mov_b32_e32 v8, v11
	s_branch .LBB34_3
.LBB34_17:
	s_endpgm
	.section	.rodata,"a",@progbits
	.p2align	6, 0x0
	.amdhsa_kernel _ZN9rocsparseL28internal_extract_fill_kernelILj1024EaliEEvT2_PKT1_PKS1_PKT0_21rocsparse_index_base_b20rocsparse_diag_type_S4_PS1_PS7_SA_
		.amdhsa_group_segment_fixed_size 0
		.amdhsa_private_segment_fixed_size 0
		.amdhsa_kernarg_size 336
		.amdhsa_user_sgpr_count 6
		.amdhsa_user_sgpr_private_segment_buffer 1
		.amdhsa_user_sgpr_dispatch_ptr 0
		.amdhsa_user_sgpr_queue_ptr 0
		.amdhsa_user_sgpr_kernarg_segment_ptr 1
		.amdhsa_user_sgpr_dispatch_id 0
		.amdhsa_user_sgpr_flat_scratch_init 0
		.amdhsa_user_sgpr_private_segment_size 0
		.amdhsa_uses_dynamic_stack 0
		.amdhsa_system_sgpr_private_segment_wavefront_offset 0
		.amdhsa_system_sgpr_workgroup_id_x 1
		.amdhsa_system_sgpr_workgroup_id_y 0
		.amdhsa_system_sgpr_workgroup_id_z 0
		.amdhsa_system_sgpr_workgroup_info 0
		.amdhsa_system_vgpr_workitem_id 0
		.amdhsa_next_free_vgpr 17
		.amdhsa_next_free_sgpr 19
		.amdhsa_reserve_vcc 1
		.amdhsa_reserve_flat_scratch 0
		.amdhsa_float_round_mode_32 0
		.amdhsa_float_round_mode_16_64 0
		.amdhsa_float_denorm_mode_32 3
		.amdhsa_float_denorm_mode_16_64 3
		.amdhsa_dx10_clamp 1
		.amdhsa_ieee_mode 1
		.amdhsa_fp16_overflow 0
		.amdhsa_exception_fp_ieee_invalid_op 0
		.amdhsa_exception_fp_denorm_src 0
		.amdhsa_exception_fp_ieee_div_zero 0
		.amdhsa_exception_fp_ieee_overflow 0
		.amdhsa_exception_fp_ieee_underflow 0
		.amdhsa_exception_fp_ieee_inexact 0
		.amdhsa_exception_int_div_zero 0
	.end_amdhsa_kernel
	.section	.text._ZN9rocsparseL28internal_extract_fill_kernelILj1024EaliEEvT2_PKT1_PKS1_PKT0_21rocsparse_index_base_b20rocsparse_diag_type_S4_PS1_PS7_SA_,"axG",@progbits,_ZN9rocsparseL28internal_extract_fill_kernelILj1024EaliEEvT2_PKT1_PKS1_PKT0_21rocsparse_index_base_b20rocsparse_diag_type_S4_PS1_PS7_SA_,comdat
.Lfunc_end34:
	.size	_ZN9rocsparseL28internal_extract_fill_kernelILj1024EaliEEvT2_PKT1_PKS1_PKT0_21rocsparse_index_base_b20rocsparse_diag_type_S4_PS1_PS7_SA_, .Lfunc_end34-_ZN9rocsparseL28internal_extract_fill_kernelILj1024EaliEEvT2_PKT1_PKS1_PKT0_21rocsparse_index_base_b20rocsparse_diag_type_S4_PS1_PS7_SA_
                                        ; -- End function
	.set _ZN9rocsparseL28internal_extract_fill_kernelILj1024EaliEEvT2_PKT1_PKS1_PKT0_21rocsparse_index_base_b20rocsparse_diag_type_S4_PS1_PS7_SA_.num_vgpr, 17
	.set _ZN9rocsparseL28internal_extract_fill_kernelILj1024EaliEEvT2_PKT1_PKS1_PKT0_21rocsparse_index_base_b20rocsparse_diag_type_S4_PS1_PS7_SA_.num_agpr, 0
	.set _ZN9rocsparseL28internal_extract_fill_kernelILj1024EaliEEvT2_PKT1_PKS1_PKT0_21rocsparse_index_base_b20rocsparse_diag_type_S4_PS1_PS7_SA_.numbered_sgpr, 19
	.set _ZN9rocsparseL28internal_extract_fill_kernelILj1024EaliEEvT2_PKT1_PKS1_PKT0_21rocsparse_index_base_b20rocsparse_diag_type_S4_PS1_PS7_SA_.num_named_barrier, 0
	.set _ZN9rocsparseL28internal_extract_fill_kernelILj1024EaliEEvT2_PKT1_PKS1_PKT0_21rocsparse_index_base_b20rocsparse_diag_type_S4_PS1_PS7_SA_.private_seg_size, 0
	.set _ZN9rocsparseL28internal_extract_fill_kernelILj1024EaliEEvT2_PKT1_PKS1_PKT0_21rocsparse_index_base_b20rocsparse_diag_type_S4_PS1_PS7_SA_.uses_vcc, 1
	.set _ZN9rocsparseL28internal_extract_fill_kernelILj1024EaliEEvT2_PKT1_PKS1_PKT0_21rocsparse_index_base_b20rocsparse_diag_type_S4_PS1_PS7_SA_.uses_flat_scratch, 0
	.set _ZN9rocsparseL28internal_extract_fill_kernelILj1024EaliEEvT2_PKT1_PKS1_PKT0_21rocsparse_index_base_b20rocsparse_diag_type_S4_PS1_PS7_SA_.has_dyn_sized_stack, 0
	.set _ZN9rocsparseL28internal_extract_fill_kernelILj1024EaliEEvT2_PKT1_PKS1_PKT0_21rocsparse_index_base_b20rocsparse_diag_type_S4_PS1_PS7_SA_.has_recursion, 0
	.set _ZN9rocsparseL28internal_extract_fill_kernelILj1024EaliEEvT2_PKT1_PKS1_PKT0_21rocsparse_index_base_b20rocsparse_diag_type_S4_PS1_PS7_SA_.has_indirect_call, 0
	.section	.AMDGPU.csdata,"",@progbits
; Kernel info:
; codeLenInByte = 548
; TotalNumSgprs: 23
; NumVgprs: 17
; ScratchSize: 0
; MemoryBound: 0
; FloatMode: 240
; IeeeMode: 1
; LDSByteSize: 0 bytes/workgroup (compile time only)
; SGPRBlocks: 2
; VGPRBlocks: 4
; NumSGPRsForWavesPerEU: 23
; NumVGPRsForWavesPerEU: 17
; Occupancy: 10
; WaveLimiterHint : 0
; COMPUTE_PGM_RSRC2:SCRATCH_EN: 0
; COMPUTE_PGM_RSRC2:USER_SGPR: 6
; COMPUTE_PGM_RSRC2:TRAP_HANDLER: 0
; COMPUTE_PGM_RSRC2:TGID_X_EN: 1
; COMPUTE_PGM_RSRC2:TGID_Y_EN: 0
; COMPUTE_PGM_RSRC2:TGID_Z_EN: 0
; COMPUTE_PGM_RSRC2:TIDIG_COMP_CNT: 0
	.section	.text._ZN9rocsparseL28internal_extract_fill_kernelILj1024EallEEvT2_PKT1_PKS1_PKT0_21rocsparse_index_base_b20rocsparse_diag_type_S4_PS1_PS7_SA_,"axG",@progbits,_ZN9rocsparseL28internal_extract_fill_kernelILj1024EallEEvT2_PKT1_PKS1_PKT0_21rocsparse_index_base_b20rocsparse_diag_type_S4_PS1_PS7_SA_,comdat
	.globl	_ZN9rocsparseL28internal_extract_fill_kernelILj1024EallEEvT2_PKT1_PKS1_PKT0_21rocsparse_index_base_b20rocsparse_diag_type_S4_PS1_PS7_SA_ ; -- Begin function _ZN9rocsparseL28internal_extract_fill_kernelILj1024EallEEvT2_PKT1_PKS1_PKT0_21rocsparse_index_base_b20rocsparse_diag_type_S4_PS1_PS7_SA_
	.p2align	8
	.type	_ZN9rocsparseL28internal_extract_fill_kernelILj1024EallEEvT2_PKT1_PKS1_PKT0_21rocsparse_index_base_b20rocsparse_diag_type_S4_PS1_PS7_SA_,@function
_ZN9rocsparseL28internal_extract_fill_kernelILj1024EallEEvT2_PKT1_PKS1_PKT0_21rocsparse_index_base_b20rocsparse_diag_type_S4_PS1_PS7_SA_: ; @_ZN9rocsparseL28internal_extract_fill_kernelILj1024EallEEvT2_PKT1_PKS1_PKT0_21rocsparse_index_base_b20rocsparse_diag_type_S4_PS1_PS7_SA_
; %bb.0:
	s_load_dword s2, s[4:5], 0x5c
	s_load_dwordx2 s[0:1], s[4:5], 0x0
	v_mov_b32_e32 v5, 0
	s_waitcnt lgkmcnt(0)
	s_and_b32 s2, s2, 0xffff
	s_mul_i32 s6, s6, s2
	v_add_u32_e32 v4, s6, v0
	v_cmp_gt_i64_e32 vcc, s[0:1], v[4:5]
	s_and_saveexec_b64 s[0:1], vcc
	s_cbranch_execz .LBB35_17
; %bb.1:
	s_load_dwordx2 s[0:1], s[4:5], 0x8
	v_lshlrev_b64 v[6:7], 3, v[4:5]
	s_waitcnt lgkmcnt(0)
	v_mov_b32_e32 v1, s1
	v_add_co_u32_e32 v0, vcc, s0, v6
	v_addc_co_u32_e32 v1, vcc, v1, v7, vcc
	global_load_dwordx4 v[0:3], v[0:1], off
	s_waitcnt vmcnt(0)
	v_cmp_lt_i64_e32 vcc, v[0:1], v[2:3]
	s_and_b64 exec, exec, vcc
	s_cbranch_execz .LBB35_17
; %bb.2:
	s_load_dwordx4 s[0:3], s[4:5], 0x30
	s_waitcnt lgkmcnt(0)
	v_mov_b32_e32 v8, s1
	v_add_co_u32_e32 v6, vcc, s0, v6
	v_addc_co_u32_e32 v7, vcc, v8, v7, vcc
	global_load_dwordx2 v[8:9], v[6:7], off
	s_load_dwordx8 s[8:15], s[4:5], 0x10
	s_load_dwordx2 s[6:7], s[4:5], 0x40
	s_load_dword s20, s[4:5], 0x48
	v_lshlrev_b64 v[6:7], 3, v[0:1]
	s_mov_b32 s5, 0
	s_waitcnt lgkmcnt(0)
	v_subrev_co_u32_e32 v2, vcc, s12, v2
	s_bitcmp1_b32 s13, 0
	v_subbrev_co_u32_e32 v3, vcc, 0, v3, vcc
	s_cselect_b64 s[0:1], -1, 0
	s_mov_b32 s4, s12
	v_subrev_co_u32_e32 v0, vcc, s12, v0
	s_xor_b64 s[12:13], s[0:1], -1
	s_cmp_lg_u32 s14, 1
	v_subbrev_co_u32_e32 v1, vcc, 0, v1, vcc
	s_cselect_b64 s[14:15], -1, 0
	s_lshl_b64 s[0:1], s[4:5], 3
	v_mov_b32_e32 v11, s1
	v_subrev_co_u32_e32 v6, vcc, s0, v6
	v_subb_co_u32_e32 v7, vcc, v7, v11, vcc
	v_mov_b32_e32 v10, s9
	v_add_co_u32_e32 v6, vcc, s8, v6
	v_addc_co_u32_e32 v7, vcc, v10, v7, vcc
	s_mov_b64 s[8:9], 0
	s_waitcnt vmcnt(0)
	v_subrev_co_u32_e32 v8, vcc, s20, v8
	v_subbrev_co_u32_e32 v9, vcc, 0, v9, vcc
	s_branch .LBB35_4
.LBB35_3:                               ;   in Loop: Header=BB35_4 Depth=1
	s_or_b64 exec, exec, s[0:1]
	v_add_co_u32_e32 v0, vcc, 1, v0
	v_addc_co_u32_e32 v1, vcc, 0, v1, vcc
	v_cmp_ge_i64_e32 vcc, v[0:1], v[2:3]
	s_or_b64 s[8:9], vcc, s[8:9]
	v_add_co_u32_e32 v6, vcc, 8, v6
	v_addc_co_u32_e32 v7, vcc, 0, v7, vcc
	s_andn2_b64 exec, exec, s[8:9]
	s_cbranch_execz .LBB35_17
.LBB35_4:                               ; =>This Inner Loop Header: Depth=1
	global_load_dwordx2 v[10:11], v[6:7], off
	s_and_b64 vcc, exec, s[12:13]
	s_mov_b64 s[18:19], -1
                                        ; implicit-def: $sgpr16_sgpr17
	s_waitcnt vmcnt(0)
	v_subrev_co_u32_e64 v10, s[0:1], s4, v10
	v_subbrev_co_u32_e64 v11, s[0:1], 0, v11, s[0:1]
	s_cbranch_vccz .LBB35_10
; %bb.5:                                ;   in Loop: Header=BB35_4 Depth=1
	s_mov_b64 s[0:1], -1
	s_and_b64 vcc, exec, s[14:15]
                                        ; implicit-def: $sgpr16_sgpr17
	s_cbranch_vccz .LBB35_7
; %bb.6:                                ;   in Loop: Header=BB35_4 Depth=1
	v_cmp_ge_i64_e64 s[16:17], v[10:11], v[4:5]
	s_mov_b64 s[0:1], 0
.LBB35_7:                               ;   in Loop: Header=BB35_4 Depth=1
	s_andn2_b64 vcc, exec, s[0:1]
	s_cbranch_vccnz .LBB35_9
; %bb.8:                                ;   in Loop: Header=BB35_4 Depth=1
	v_cmp_gt_i64_e32 vcc, v[10:11], v[4:5]
	s_andn2_b64 s[0:1], s[16:17], exec
	s_and_b64 s[16:17], vcc, exec
	s_or_b64 s[16:17], s[0:1], s[16:17]
.LBB35_9:                               ;   in Loop: Header=BB35_4 Depth=1
	s_mov_b64 s[18:19], 0
.LBB35_10:                              ;   in Loop: Header=BB35_4 Depth=1
	s_andn2_b64 vcc, exec, s[18:19]
	s_cbranch_vccnz .LBB35_15
; %bb.11:                               ;   in Loop: Header=BB35_4 Depth=1
	s_mov_b64 s[0:1], -1
	s_and_b64 vcc, exec, s[14:15]
                                        ; implicit-def: $sgpr16_sgpr17
	s_cbranch_vccz .LBB35_13
; %bb.12:                               ;   in Loop: Header=BB35_4 Depth=1
	v_cmp_le_i64_e64 s[16:17], v[10:11], v[4:5]
	s_mov_b64 s[0:1], 0
.LBB35_13:                              ;   in Loop: Header=BB35_4 Depth=1
	s_andn2_b64 vcc, exec, s[0:1]
	s_cbranch_vccnz .LBB35_15
; %bb.14:                               ;   in Loop: Header=BB35_4 Depth=1
	v_cmp_lt_i64_e32 vcc, v[10:11], v[4:5]
	s_andn2_b64 s[0:1], s[16:17], exec
	s_and_b64 s[16:17], vcc, exec
	s_or_b64 s[16:17], s[0:1], s[16:17]
.LBB35_15:                              ;   in Loop: Header=BB35_4 Depth=1
	s_and_saveexec_b64 s[0:1], s[16:17]
	s_cbranch_execz .LBB35_3
; %bb.16:                               ;   in Loop: Header=BB35_4 Depth=1
	v_mov_b32_e32 v13, s11
	v_add_co_u32_e32 v12, vcc, s10, v0
	v_addc_co_u32_e32 v13, vcc, v13, v1, vcc
	global_load_ubyte v16, v[12:13], off
	v_add_co_u32_e32 v12, vcc, 1, v8
	v_addc_co_u32_e32 v13, vcc, 0, v9, vcc
	v_add_co_u32_e32 v10, vcc, s20, v10
	v_addc_co_u32_e32 v11, vcc, 0, v11, vcc
	v_mov_b32_e32 v17, s7
	v_lshlrev_b64 v[14:15], 3, v[8:9]
	v_add_co_u32_e32 v8, vcc, s6, v8
	v_addc_co_u32_e32 v9, vcc, v17, v9, vcc
	v_mov_b32_e32 v18, s3
	v_add_co_u32_e32 v14, vcc, s2, v14
	v_addc_co_u32_e32 v15, vcc, v18, v15, vcc
	global_store_dwordx2 v[14:15], v[10:11], off
	s_waitcnt vmcnt(1)
	global_store_byte v[8:9], v16, off
	v_mov_b32_e32 v8, v12
	v_mov_b32_e32 v9, v13
	s_branch .LBB35_3
.LBB35_17:
	s_endpgm
	.section	.rodata,"a",@progbits
	.p2align	6, 0x0
	.amdhsa_kernel _ZN9rocsparseL28internal_extract_fill_kernelILj1024EallEEvT2_PKT1_PKS1_PKT0_21rocsparse_index_base_b20rocsparse_diag_type_S4_PS1_PS7_SA_
		.amdhsa_group_segment_fixed_size 0
		.amdhsa_private_segment_fixed_size 0
		.amdhsa_kernarg_size 336
		.amdhsa_user_sgpr_count 6
		.amdhsa_user_sgpr_private_segment_buffer 1
		.amdhsa_user_sgpr_dispatch_ptr 0
		.amdhsa_user_sgpr_queue_ptr 0
		.amdhsa_user_sgpr_kernarg_segment_ptr 1
		.amdhsa_user_sgpr_dispatch_id 0
		.amdhsa_user_sgpr_flat_scratch_init 0
		.amdhsa_user_sgpr_private_segment_size 0
		.amdhsa_uses_dynamic_stack 0
		.amdhsa_system_sgpr_private_segment_wavefront_offset 0
		.amdhsa_system_sgpr_workgroup_id_x 1
		.amdhsa_system_sgpr_workgroup_id_y 0
		.amdhsa_system_sgpr_workgroup_id_z 0
		.amdhsa_system_sgpr_workgroup_info 0
		.amdhsa_system_vgpr_workitem_id 0
		.amdhsa_next_free_vgpr 19
		.amdhsa_next_free_sgpr 21
		.amdhsa_reserve_vcc 1
		.amdhsa_reserve_flat_scratch 0
		.amdhsa_float_round_mode_32 0
		.amdhsa_float_round_mode_16_64 0
		.amdhsa_float_denorm_mode_32 3
		.amdhsa_float_denorm_mode_16_64 3
		.amdhsa_dx10_clamp 1
		.amdhsa_ieee_mode 1
		.amdhsa_fp16_overflow 0
		.amdhsa_exception_fp_ieee_invalid_op 0
		.amdhsa_exception_fp_denorm_src 0
		.amdhsa_exception_fp_ieee_div_zero 0
		.amdhsa_exception_fp_ieee_overflow 0
		.amdhsa_exception_fp_ieee_underflow 0
		.amdhsa_exception_fp_ieee_inexact 0
		.amdhsa_exception_int_div_zero 0
	.end_amdhsa_kernel
	.section	.text._ZN9rocsparseL28internal_extract_fill_kernelILj1024EallEEvT2_PKT1_PKS1_PKT0_21rocsparse_index_base_b20rocsparse_diag_type_S4_PS1_PS7_SA_,"axG",@progbits,_ZN9rocsparseL28internal_extract_fill_kernelILj1024EallEEvT2_PKT1_PKS1_PKT0_21rocsparse_index_base_b20rocsparse_diag_type_S4_PS1_PS7_SA_,comdat
.Lfunc_end35:
	.size	_ZN9rocsparseL28internal_extract_fill_kernelILj1024EallEEvT2_PKT1_PKS1_PKT0_21rocsparse_index_base_b20rocsparse_diag_type_S4_PS1_PS7_SA_, .Lfunc_end35-_ZN9rocsparseL28internal_extract_fill_kernelILj1024EallEEvT2_PKT1_PKS1_PKT0_21rocsparse_index_base_b20rocsparse_diag_type_S4_PS1_PS7_SA_
                                        ; -- End function
	.set _ZN9rocsparseL28internal_extract_fill_kernelILj1024EallEEvT2_PKT1_PKS1_PKT0_21rocsparse_index_base_b20rocsparse_diag_type_S4_PS1_PS7_SA_.num_vgpr, 19
	.set _ZN9rocsparseL28internal_extract_fill_kernelILj1024EallEEvT2_PKT1_PKS1_PKT0_21rocsparse_index_base_b20rocsparse_diag_type_S4_PS1_PS7_SA_.num_agpr, 0
	.set _ZN9rocsparseL28internal_extract_fill_kernelILj1024EallEEvT2_PKT1_PKS1_PKT0_21rocsparse_index_base_b20rocsparse_diag_type_S4_PS1_PS7_SA_.numbered_sgpr, 21
	.set _ZN9rocsparseL28internal_extract_fill_kernelILj1024EallEEvT2_PKT1_PKS1_PKT0_21rocsparse_index_base_b20rocsparse_diag_type_S4_PS1_PS7_SA_.num_named_barrier, 0
	.set _ZN9rocsparseL28internal_extract_fill_kernelILj1024EallEEvT2_PKT1_PKS1_PKT0_21rocsparse_index_base_b20rocsparse_diag_type_S4_PS1_PS7_SA_.private_seg_size, 0
	.set _ZN9rocsparseL28internal_extract_fill_kernelILj1024EallEEvT2_PKT1_PKS1_PKT0_21rocsparse_index_base_b20rocsparse_diag_type_S4_PS1_PS7_SA_.uses_vcc, 1
	.set _ZN9rocsparseL28internal_extract_fill_kernelILj1024EallEEvT2_PKT1_PKS1_PKT0_21rocsparse_index_base_b20rocsparse_diag_type_S4_PS1_PS7_SA_.uses_flat_scratch, 0
	.set _ZN9rocsparseL28internal_extract_fill_kernelILj1024EallEEvT2_PKT1_PKS1_PKT0_21rocsparse_index_base_b20rocsparse_diag_type_S4_PS1_PS7_SA_.has_dyn_sized_stack, 0
	.set _ZN9rocsparseL28internal_extract_fill_kernelILj1024EallEEvT2_PKT1_PKS1_PKT0_21rocsparse_index_base_b20rocsparse_diag_type_S4_PS1_PS7_SA_.has_recursion, 0
	.set _ZN9rocsparseL28internal_extract_fill_kernelILj1024EallEEvT2_PKT1_PKS1_PKT0_21rocsparse_index_base_b20rocsparse_diag_type_S4_PS1_PS7_SA_.has_indirect_call, 0
	.section	.AMDGPU.csdata,"",@progbits
; Kernel info:
; codeLenInByte = 564
; TotalNumSgprs: 25
; NumVgprs: 19
; ScratchSize: 0
; MemoryBound: 0
; FloatMode: 240
; IeeeMode: 1
; LDSByteSize: 0 bytes/workgroup (compile time only)
; SGPRBlocks: 3
; VGPRBlocks: 4
; NumSGPRsForWavesPerEU: 25
; NumVGPRsForWavesPerEU: 19
; Occupancy: 10
; WaveLimiterHint : 0
; COMPUTE_PGM_RSRC2:SCRATCH_EN: 0
; COMPUTE_PGM_RSRC2:USER_SGPR: 6
; COMPUTE_PGM_RSRC2:TRAP_HANDLER: 0
; COMPUTE_PGM_RSRC2:TGID_X_EN: 1
; COMPUTE_PGM_RSRC2:TGID_Y_EN: 0
; COMPUTE_PGM_RSRC2:TGID_Z_EN: 0
; COMPUTE_PGM_RSRC2:TIDIG_COMP_CNT: 0
	.section	.text._ZN9rocsparseL28internal_extract_fill_kernelILj1024EhiiEEvT2_PKT1_PKS1_PKT0_21rocsparse_index_base_b20rocsparse_diag_type_S4_PS1_PS7_SA_,"axG",@progbits,_ZN9rocsparseL28internal_extract_fill_kernelILj1024EhiiEEvT2_PKT1_PKS1_PKT0_21rocsparse_index_base_b20rocsparse_diag_type_S4_PS1_PS7_SA_,comdat
	.globl	_ZN9rocsparseL28internal_extract_fill_kernelILj1024EhiiEEvT2_PKT1_PKS1_PKT0_21rocsparse_index_base_b20rocsparse_diag_type_S4_PS1_PS7_SA_ ; -- Begin function _ZN9rocsparseL28internal_extract_fill_kernelILj1024EhiiEEvT2_PKT1_PKS1_PKT0_21rocsparse_index_base_b20rocsparse_diag_type_S4_PS1_PS7_SA_
	.p2align	8
	.type	_ZN9rocsparseL28internal_extract_fill_kernelILj1024EhiiEEvT2_PKT1_PKS1_PKT0_21rocsparse_index_base_b20rocsparse_diag_type_S4_PS1_PS7_SA_,@function
_ZN9rocsparseL28internal_extract_fill_kernelILj1024EhiiEEvT2_PKT1_PKS1_PKT0_21rocsparse_index_base_b20rocsparse_diag_type_S4_PS1_PS7_SA_: ; @_ZN9rocsparseL28internal_extract_fill_kernelILj1024EhiiEEvT2_PKT1_PKS1_PKT0_21rocsparse_index_base_b20rocsparse_diag_type_S4_PS1_PS7_SA_
; %bb.0:
	s_load_dword s0, s[4:5], 0x5c
	s_load_dword s1, s[4:5], 0x0
	s_waitcnt lgkmcnt(0)
	s_and_b32 s0, s0, 0xffff
	s_mul_i32 s6, s6, s0
	v_add_u32_e32 v0, s6, v0
	v_cmp_gt_i32_e32 vcc, s1, v0
	s_and_saveexec_b64 s[0:1], vcc
	s_cbranch_execz .LBB36_17
; %bb.1:
	s_load_dwordx2 s[0:1], s[4:5], 0x8
	v_ashrrev_i32_e32 v1, 31, v0
	v_lshlrev_b64 v[3:4], 2, v[0:1]
	s_waitcnt lgkmcnt(0)
	v_mov_b32_e32 v2, s1
	v_add_co_u32_e32 v1, vcc, s0, v3
	v_addc_co_u32_e32 v2, vcc, v2, v4, vcc
	global_load_dwordx2 v[1:2], v[1:2], off
	s_waitcnt vmcnt(0)
	v_cmp_lt_i32_e32 vcc, v1, v2
	s_and_b64 exec, exec, vcc
	s_cbranch_execz .LBB36_17
; %bb.2:
	s_load_dwordx4 s[0:3], s[4:5], 0x30
	s_waitcnt lgkmcnt(0)
	v_mov_b32_e32 v5, s1
	v_add_co_u32_e32 v3, vcc, s0, v3
	v_addc_co_u32_e32 v4, vcc, v5, v4, vcc
	global_load_dword v7, v[3:4], off
	s_load_dwordx8 s[8:15], s[4:5], 0x10
	s_load_dwordx2 s[0:1], s[4:5], 0x40
	s_load_dword s16, s[4:5], 0x48
	s_waitcnt lgkmcnt(0)
	v_subrev_u32_e32 v1, s12, v1
	v_subrev_u32_e32 v9, s12, v2
	s_bitcmp1_b32 s13, 0
	v_ashrrev_i32_e32 v2, 31, v1
	v_mov_b32_e32 v4, s11
	s_cselect_b64 s[4:5], -1, 0
	v_lshlrev_b64 v[5:6], 2, v[1:2]
	v_add_co_u32_e32 v3, vcc, s10, v1
	s_xor_b64 s[4:5], s[4:5], -1
	v_addc_co_u32_e32 v4, vcc, v4, v2, vcc
	v_mov_b32_e32 v8, s9
	s_cmp_lg_u32 s14, 1
	v_add_co_u32_e32 v5, vcc, s8, v5
	s_cselect_b64 s[6:7], -1, 0
	v_addc_co_u32_e32 v6, vcc, v8, v6, vcc
	s_mov_b64 s[8:9], 0
	s_waitcnt vmcnt(0)
	v_subrev_u32_e32 v7, s16, v7
	s_branch .LBB36_4
.LBB36_3:                               ;   in Loop: Header=BB36_4 Depth=1
	s_or_b64 exec, exec, s[14:15]
	v_add_co_u32_e32 v5, vcc, 4, v5
	v_add_u32_e32 v1, 1, v1
	v_addc_co_u32_e32 v6, vcc, 0, v6, vcc
	v_cmp_ge_i32_e32 vcc, v1, v9
	s_or_b64 s[8:9], vcc, s[8:9]
	v_add_co_u32_e32 v3, vcc, 1, v3
	v_addc_co_u32_e32 v4, vcc, 0, v4, vcc
	s_andn2_b64 exec, exec, s[8:9]
	s_cbranch_execz .LBB36_17
.LBB36_4:                               ; =>This Inner Loop Header: Depth=1
	global_load_dword v2, v[5:6], off
	s_and_b64 vcc, exec, s[4:5]
	s_mov_b64 s[14:15], -1
                                        ; implicit-def: $sgpr10_sgpr11
	s_waitcnt vmcnt(0)
	v_subrev_u32_e32 v2, s12, v2
	s_cbranch_vccz .LBB36_10
; %bb.5:                                ;   in Loop: Header=BB36_4 Depth=1
	s_and_b64 vcc, exec, s[6:7]
                                        ; implicit-def: $sgpr10_sgpr11
	s_cbranch_vccz .LBB36_7
; %bb.6:                                ;   in Loop: Header=BB36_4 Depth=1
	v_cmp_le_i32_e64 s[10:11], v0, v2
	s_mov_b64 s[14:15], 0
.LBB36_7:                               ;   in Loop: Header=BB36_4 Depth=1
	s_andn2_b64 vcc, exec, s[14:15]
	s_cbranch_vccnz .LBB36_9
; %bb.8:                                ;   in Loop: Header=BB36_4 Depth=1
	v_cmp_lt_i32_e32 vcc, v0, v2
	s_andn2_b64 s[10:11], s[10:11], exec
	s_and_b64 s[14:15], vcc, exec
	s_or_b64 s[10:11], s[10:11], s[14:15]
.LBB36_9:                               ;   in Loop: Header=BB36_4 Depth=1
	s_mov_b64 s[14:15], 0
.LBB36_10:                              ;   in Loop: Header=BB36_4 Depth=1
	s_andn2_b64 vcc, exec, s[14:15]
	s_cbranch_vccnz .LBB36_15
; %bb.11:                               ;   in Loop: Header=BB36_4 Depth=1
	s_mov_b64 s[14:15], -1
	s_and_b64 vcc, exec, s[6:7]
                                        ; implicit-def: $sgpr10_sgpr11
	s_cbranch_vccz .LBB36_13
; %bb.12:                               ;   in Loop: Header=BB36_4 Depth=1
	v_cmp_ge_i32_e64 s[10:11], v0, v2
	s_mov_b64 s[14:15], 0
.LBB36_13:                              ;   in Loop: Header=BB36_4 Depth=1
	s_andn2_b64 vcc, exec, s[14:15]
	s_cbranch_vccnz .LBB36_15
; %bb.14:                               ;   in Loop: Header=BB36_4 Depth=1
	v_cmp_gt_i32_e32 vcc, v0, v2
	s_andn2_b64 s[10:11], s[10:11], exec
	s_and_b64 s[14:15], vcc, exec
	s_or_b64 s[10:11], s[10:11], s[14:15]
.LBB36_15:                              ;   in Loop: Header=BB36_4 Depth=1
	s_and_saveexec_b64 s[14:15], s[10:11]
	s_cbranch_execz .LBB36_3
; %bb.16:                               ;   in Loop: Header=BB36_4 Depth=1
	global_load_ubyte v12, v[3:4], off
	v_ashrrev_i32_e32 v8, 31, v7
	v_mov_b32_e32 v11, s1
	v_add_co_u32_e32 v10, vcc, s0, v7
	v_add_u32_e32 v13, 1, v7
	v_addc_co_u32_e32 v11, vcc, v11, v8, vcc
	v_lshlrev_b64 v[7:8], 2, v[7:8]
	v_mov_b32_e32 v14, s3
	v_add_co_u32_e32 v7, vcc, s2, v7
	v_add_u32_e32 v2, s16, v2
	v_addc_co_u32_e32 v8, vcc, v14, v8, vcc
	global_store_dword v[7:8], v2, off
	s_waitcnt vmcnt(1)
	global_store_byte v[10:11], v12, off
	v_mov_b32_e32 v7, v13
	s_branch .LBB36_3
.LBB36_17:
	s_endpgm
	.section	.rodata,"a",@progbits
	.p2align	6, 0x0
	.amdhsa_kernel _ZN9rocsparseL28internal_extract_fill_kernelILj1024EhiiEEvT2_PKT1_PKS1_PKT0_21rocsparse_index_base_b20rocsparse_diag_type_S4_PS1_PS7_SA_
		.amdhsa_group_segment_fixed_size 0
		.amdhsa_private_segment_fixed_size 0
		.amdhsa_kernarg_size 336
		.amdhsa_user_sgpr_count 6
		.amdhsa_user_sgpr_private_segment_buffer 1
		.amdhsa_user_sgpr_dispatch_ptr 0
		.amdhsa_user_sgpr_queue_ptr 0
		.amdhsa_user_sgpr_kernarg_segment_ptr 1
		.amdhsa_user_sgpr_dispatch_id 0
		.amdhsa_user_sgpr_flat_scratch_init 0
		.amdhsa_user_sgpr_private_segment_size 0
		.amdhsa_uses_dynamic_stack 0
		.amdhsa_system_sgpr_private_segment_wavefront_offset 0
		.amdhsa_system_sgpr_workgroup_id_x 1
		.amdhsa_system_sgpr_workgroup_id_y 0
		.amdhsa_system_sgpr_workgroup_id_z 0
		.amdhsa_system_sgpr_workgroup_info 0
		.amdhsa_system_vgpr_workitem_id 0
		.amdhsa_next_free_vgpr 15
		.amdhsa_next_free_sgpr 17
		.amdhsa_reserve_vcc 1
		.amdhsa_reserve_flat_scratch 0
		.amdhsa_float_round_mode_32 0
		.amdhsa_float_round_mode_16_64 0
		.amdhsa_float_denorm_mode_32 3
		.amdhsa_float_denorm_mode_16_64 3
		.amdhsa_dx10_clamp 1
		.amdhsa_ieee_mode 1
		.amdhsa_fp16_overflow 0
		.amdhsa_exception_fp_ieee_invalid_op 0
		.amdhsa_exception_fp_denorm_src 0
		.amdhsa_exception_fp_ieee_div_zero 0
		.amdhsa_exception_fp_ieee_overflow 0
		.amdhsa_exception_fp_ieee_underflow 0
		.amdhsa_exception_fp_ieee_inexact 0
		.amdhsa_exception_int_div_zero 0
	.end_amdhsa_kernel
	.section	.text._ZN9rocsparseL28internal_extract_fill_kernelILj1024EhiiEEvT2_PKT1_PKS1_PKT0_21rocsparse_index_base_b20rocsparse_diag_type_S4_PS1_PS7_SA_,"axG",@progbits,_ZN9rocsparseL28internal_extract_fill_kernelILj1024EhiiEEvT2_PKT1_PKS1_PKT0_21rocsparse_index_base_b20rocsparse_diag_type_S4_PS1_PS7_SA_,comdat
.Lfunc_end36:
	.size	_ZN9rocsparseL28internal_extract_fill_kernelILj1024EhiiEEvT2_PKT1_PKS1_PKT0_21rocsparse_index_base_b20rocsparse_diag_type_S4_PS1_PS7_SA_, .Lfunc_end36-_ZN9rocsparseL28internal_extract_fill_kernelILj1024EhiiEEvT2_PKT1_PKS1_PKT0_21rocsparse_index_base_b20rocsparse_diag_type_S4_PS1_PS7_SA_
                                        ; -- End function
	.set _ZN9rocsparseL28internal_extract_fill_kernelILj1024EhiiEEvT2_PKT1_PKS1_PKT0_21rocsparse_index_base_b20rocsparse_diag_type_S4_PS1_PS7_SA_.num_vgpr, 15
	.set _ZN9rocsparseL28internal_extract_fill_kernelILj1024EhiiEEvT2_PKT1_PKS1_PKT0_21rocsparse_index_base_b20rocsparse_diag_type_S4_PS1_PS7_SA_.num_agpr, 0
	.set _ZN9rocsparseL28internal_extract_fill_kernelILj1024EhiiEEvT2_PKT1_PKS1_PKT0_21rocsparse_index_base_b20rocsparse_diag_type_S4_PS1_PS7_SA_.numbered_sgpr, 17
	.set _ZN9rocsparseL28internal_extract_fill_kernelILj1024EhiiEEvT2_PKT1_PKS1_PKT0_21rocsparse_index_base_b20rocsparse_diag_type_S4_PS1_PS7_SA_.num_named_barrier, 0
	.set _ZN9rocsparseL28internal_extract_fill_kernelILj1024EhiiEEvT2_PKT1_PKS1_PKT0_21rocsparse_index_base_b20rocsparse_diag_type_S4_PS1_PS7_SA_.private_seg_size, 0
	.set _ZN9rocsparseL28internal_extract_fill_kernelILj1024EhiiEEvT2_PKT1_PKS1_PKT0_21rocsparse_index_base_b20rocsparse_diag_type_S4_PS1_PS7_SA_.uses_vcc, 1
	.set _ZN9rocsparseL28internal_extract_fill_kernelILj1024EhiiEEvT2_PKT1_PKS1_PKT0_21rocsparse_index_base_b20rocsparse_diag_type_S4_PS1_PS7_SA_.uses_flat_scratch, 0
	.set _ZN9rocsparseL28internal_extract_fill_kernelILj1024EhiiEEvT2_PKT1_PKS1_PKT0_21rocsparse_index_base_b20rocsparse_diag_type_S4_PS1_PS7_SA_.has_dyn_sized_stack, 0
	.set _ZN9rocsparseL28internal_extract_fill_kernelILj1024EhiiEEvT2_PKT1_PKS1_PKT0_21rocsparse_index_base_b20rocsparse_diag_type_S4_PS1_PS7_SA_.has_recursion, 0
	.set _ZN9rocsparseL28internal_extract_fill_kernelILj1024EhiiEEvT2_PKT1_PKS1_PKT0_21rocsparse_index_base_b20rocsparse_diag_type_S4_PS1_PS7_SA_.has_indirect_call, 0
	.section	.AMDGPU.csdata,"",@progbits
; Kernel info:
; codeLenInByte = 512
; TotalNumSgprs: 21
; NumVgprs: 15
; ScratchSize: 0
; MemoryBound: 0
; FloatMode: 240
; IeeeMode: 1
; LDSByteSize: 0 bytes/workgroup (compile time only)
; SGPRBlocks: 2
; VGPRBlocks: 3
; NumSGPRsForWavesPerEU: 21
; NumVGPRsForWavesPerEU: 15
; Occupancy: 10
; WaveLimiterHint : 0
; COMPUTE_PGM_RSRC2:SCRATCH_EN: 0
; COMPUTE_PGM_RSRC2:USER_SGPR: 6
; COMPUTE_PGM_RSRC2:TRAP_HANDLER: 0
; COMPUTE_PGM_RSRC2:TGID_X_EN: 1
; COMPUTE_PGM_RSRC2:TGID_Y_EN: 0
; COMPUTE_PGM_RSRC2:TGID_Z_EN: 0
; COMPUTE_PGM_RSRC2:TIDIG_COMP_CNT: 0
	.section	.text._ZN9rocsparseL28internal_extract_fill_kernelILj1024EhilEEvT2_PKT1_PKS1_PKT0_21rocsparse_index_base_b20rocsparse_diag_type_S4_PS1_PS7_SA_,"axG",@progbits,_ZN9rocsparseL28internal_extract_fill_kernelILj1024EhilEEvT2_PKT1_PKS1_PKT0_21rocsparse_index_base_b20rocsparse_diag_type_S4_PS1_PS7_SA_,comdat
	.globl	_ZN9rocsparseL28internal_extract_fill_kernelILj1024EhilEEvT2_PKT1_PKS1_PKT0_21rocsparse_index_base_b20rocsparse_diag_type_S4_PS1_PS7_SA_ ; -- Begin function _ZN9rocsparseL28internal_extract_fill_kernelILj1024EhilEEvT2_PKT1_PKS1_PKT0_21rocsparse_index_base_b20rocsparse_diag_type_S4_PS1_PS7_SA_
	.p2align	8
	.type	_ZN9rocsparseL28internal_extract_fill_kernelILj1024EhilEEvT2_PKT1_PKS1_PKT0_21rocsparse_index_base_b20rocsparse_diag_type_S4_PS1_PS7_SA_,@function
_ZN9rocsparseL28internal_extract_fill_kernelILj1024EhilEEvT2_PKT1_PKS1_PKT0_21rocsparse_index_base_b20rocsparse_diag_type_S4_PS1_PS7_SA_: ; @_ZN9rocsparseL28internal_extract_fill_kernelILj1024EhilEEvT2_PKT1_PKS1_PKT0_21rocsparse_index_base_b20rocsparse_diag_type_S4_PS1_PS7_SA_
; %bb.0:
	s_load_dword s2, s[4:5], 0x5c
	s_load_dwordx2 s[0:1], s[4:5], 0x0
	s_waitcnt lgkmcnt(0)
	s_and_b32 s2, s2, 0xffff
	s_mul_i32 s6, s6, s2
	v_add_u32_e32 v0, s6, v0
	v_ashrrev_i32_e32 v1, 31, v0
	v_cmp_gt_i64_e32 vcc, s[0:1], v[0:1]
	s_and_saveexec_b64 s[0:1], vcc
	s_cbranch_execz .LBB37_17
; %bb.1:
	s_load_dwordx2 s[0:1], s[4:5], 0x8
	v_lshlrev_b64 v[4:5], 2, v[0:1]
	s_waitcnt lgkmcnt(0)
	v_mov_b32_e32 v3, s1
	v_add_co_u32_e32 v2, vcc, s0, v4
	v_addc_co_u32_e32 v3, vcc, v3, v5, vcc
	global_load_dwordx2 v[2:3], v[2:3], off
	s_waitcnt vmcnt(0)
	v_cmp_lt_i32_e32 vcc, v2, v3
	s_and_b64 exec, exec, vcc
	s_cbranch_execz .LBB37_17
; %bb.2:
	s_load_dwordx4 s[0:3], s[4:5], 0x30
	s_waitcnt lgkmcnt(0)
	v_mov_b32_e32 v6, s1
	v_add_co_u32_e32 v4, vcc, s0, v4
	v_addc_co_u32_e32 v5, vcc, v6, v5, vcc
	global_load_dword v8, v[4:5], off
	s_load_dwordx8 s[8:15], s[4:5], 0x10
	s_load_dwordx2 s[6:7], s[4:5], 0x40
	s_load_dword s18, s[4:5], 0x48
	s_waitcnt lgkmcnt(0)
	v_subrev_u32_e32 v2, s12, v2
	v_subrev_u32_e32 v12, s12, v3
	s_bitcmp1_b32 s13, 0
	v_ashrrev_i32_e32 v3, 31, v2
	v_mov_b32_e32 v5, s11
	s_cselect_b64 s[0:1], -1, 0
	v_lshlrev_b64 v[6:7], 3, v[2:3]
	v_add_co_u32_e32 v4, vcc, s10, v2
	s_xor_b64 s[4:5], s[0:1], -1
	v_addc_co_u32_e32 v5, vcc, v5, v3, vcc
	v_mov_b32_e32 v9, s9
	s_cmp_lg_u32 s14, 1
	v_add_co_u32_e32 v6, vcc, s8, v6
	s_cselect_b64 s[10:11], -1, 0
	v_addc_co_u32_e32 v7, vcc, v9, v7, vcc
	s_mov_b64 s[8:9], 0
	s_waitcnt vmcnt(0)
	v_subrev_u32_e32 v8, s18, v8
	s_branch .LBB37_4
.LBB37_3:                               ;   in Loop: Header=BB37_4 Depth=1
	s_or_b64 exec, exec, s[0:1]
	v_add_co_u32_e32 v6, vcc, 8, v6
	v_add_u32_e32 v2, 1, v2
	v_addc_co_u32_e32 v7, vcc, 0, v7, vcc
	v_cmp_ge_i32_e32 vcc, v2, v12
	s_or_b64 s[8:9], vcc, s[8:9]
	v_add_co_u32_e32 v4, vcc, 1, v4
	v_addc_co_u32_e32 v5, vcc, 0, v5, vcc
	s_andn2_b64 exec, exec, s[8:9]
	s_cbranch_execz .LBB37_17
.LBB37_4:                               ; =>This Inner Loop Header: Depth=1
	global_load_dwordx2 v[10:11], v[6:7], off
	s_and_b64 vcc, exec, s[4:5]
	s_mov_b64 s[16:17], -1
                                        ; implicit-def: $sgpr14_sgpr15
	s_waitcnt vmcnt(0)
	v_subrev_co_u32_e64 v10, s[0:1], s12, v10
	v_subbrev_co_u32_e64 v11, s[0:1], 0, v11, s[0:1]
	s_cbranch_vccz .LBB37_10
; %bb.5:                                ;   in Loop: Header=BB37_4 Depth=1
	s_mov_b64 s[0:1], -1
	s_and_b64 vcc, exec, s[10:11]
                                        ; implicit-def: $sgpr14_sgpr15
	s_cbranch_vccz .LBB37_7
; %bb.6:                                ;   in Loop: Header=BB37_4 Depth=1
	v_cmp_ge_i64_e64 s[14:15], v[10:11], v[0:1]
	s_mov_b64 s[0:1], 0
.LBB37_7:                               ;   in Loop: Header=BB37_4 Depth=1
	s_andn2_b64 vcc, exec, s[0:1]
	s_cbranch_vccnz .LBB37_9
; %bb.8:                                ;   in Loop: Header=BB37_4 Depth=1
	v_cmp_gt_i64_e32 vcc, v[10:11], v[0:1]
	s_andn2_b64 s[0:1], s[14:15], exec
	s_and_b64 s[14:15], vcc, exec
	s_or_b64 s[14:15], s[0:1], s[14:15]
.LBB37_9:                               ;   in Loop: Header=BB37_4 Depth=1
	s_mov_b64 s[16:17], 0
.LBB37_10:                              ;   in Loop: Header=BB37_4 Depth=1
	s_andn2_b64 vcc, exec, s[16:17]
	s_cbranch_vccnz .LBB37_15
; %bb.11:                               ;   in Loop: Header=BB37_4 Depth=1
	s_mov_b64 s[0:1], -1
	s_and_b64 vcc, exec, s[10:11]
                                        ; implicit-def: $sgpr14_sgpr15
	s_cbranch_vccz .LBB37_13
; %bb.12:                               ;   in Loop: Header=BB37_4 Depth=1
	v_cmp_le_i64_e64 s[14:15], v[10:11], v[0:1]
	s_mov_b64 s[0:1], 0
.LBB37_13:                              ;   in Loop: Header=BB37_4 Depth=1
	s_andn2_b64 vcc, exec, s[0:1]
	s_cbranch_vccnz .LBB37_15
; %bb.14:                               ;   in Loop: Header=BB37_4 Depth=1
	v_cmp_lt_i64_e32 vcc, v[10:11], v[0:1]
	s_andn2_b64 s[0:1], s[14:15], exec
	s_and_b64 s[14:15], vcc, exec
	s_or_b64 s[14:15], s[0:1], s[14:15]
.LBB37_15:                              ;   in Loop: Header=BB37_4 Depth=1
	s_and_saveexec_b64 s[0:1], s[14:15]
	s_cbranch_execz .LBB37_3
; %bb.16:                               ;   in Loop: Header=BB37_4 Depth=1
	global_load_ubyte v3, v[4:5], off
	v_add_co_u32_e32 v10, vcc, s18, v10
	v_addc_co_u32_e32 v11, vcc, 0, v11, vcc
	v_ashrrev_i32_e32 v9, 31, v8
	v_mov_b32_e32 v14, s7
	v_add_co_u32_e32 v13, vcc, s6, v8
	v_add_u32_e32 v15, 1, v8
	v_addc_co_u32_e32 v14, vcc, v14, v9, vcc
	v_lshlrev_b64 v[8:9], 3, v[8:9]
	v_mov_b32_e32 v16, s3
	v_add_co_u32_e32 v8, vcc, s2, v8
	v_addc_co_u32_e32 v9, vcc, v16, v9, vcc
	global_store_dwordx2 v[8:9], v[10:11], off
	s_waitcnt vmcnt(1)
	global_store_byte v[13:14], v3, off
	v_mov_b32_e32 v8, v15
	s_branch .LBB37_3
.LBB37_17:
	s_endpgm
	.section	.rodata,"a",@progbits
	.p2align	6, 0x0
	.amdhsa_kernel _ZN9rocsparseL28internal_extract_fill_kernelILj1024EhilEEvT2_PKT1_PKS1_PKT0_21rocsparse_index_base_b20rocsparse_diag_type_S4_PS1_PS7_SA_
		.amdhsa_group_segment_fixed_size 0
		.amdhsa_private_segment_fixed_size 0
		.amdhsa_kernarg_size 336
		.amdhsa_user_sgpr_count 6
		.amdhsa_user_sgpr_private_segment_buffer 1
		.amdhsa_user_sgpr_dispatch_ptr 0
		.amdhsa_user_sgpr_queue_ptr 0
		.amdhsa_user_sgpr_kernarg_segment_ptr 1
		.amdhsa_user_sgpr_dispatch_id 0
		.amdhsa_user_sgpr_flat_scratch_init 0
		.amdhsa_user_sgpr_private_segment_size 0
		.amdhsa_uses_dynamic_stack 0
		.amdhsa_system_sgpr_private_segment_wavefront_offset 0
		.amdhsa_system_sgpr_workgroup_id_x 1
		.amdhsa_system_sgpr_workgroup_id_y 0
		.amdhsa_system_sgpr_workgroup_id_z 0
		.amdhsa_system_sgpr_workgroup_info 0
		.amdhsa_system_vgpr_workitem_id 0
		.amdhsa_next_free_vgpr 17
		.amdhsa_next_free_sgpr 19
		.amdhsa_reserve_vcc 1
		.amdhsa_reserve_flat_scratch 0
		.amdhsa_float_round_mode_32 0
		.amdhsa_float_round_mode_16_64 0
		.amdhsa_float_denorm_mode_32 3
		.amdhsa_float_denorm_mode_16_64 3
		.amdhsa_dx10_clamp 1
		.amdhsa_ieee_mode 1
		.amdhsa_fp16_overflow 0
		.amdhsa_exception_fp_ieee_invalid_op 0
		.amdhsa_exception_fp_denorm_src 0
		.amdhsa_exception_fp_ieee_div_zero 0
		.amdhsa_exception_fp_ieee_overflow 0
		.amdhsa_exception_fp_ieee_underflow 0
		.amdhsa_exception_fp_ieee_inexact 0
		.amdhsa_exception_int_div_zero 0
	.end_amdhsa_kernel
	.section	.text._ZN9rocsparseL28internal_extract_fill_kernelILj1024EhilEEvT2_PKT1_PKS1_PKT0_21rocsparse_index_base_b20rocsparse_diag_type_S4_PS1_PS7_SA_,"axG",@progbits,_ZN9rocsparseL28internal_extract_fill_kernelILj1024EhilEEvT2_PKT1_PKS1_PKT0_21rocsparse_index_base_b20rocsparse_diag_type_S4_PS1_PS7_SA_,comdat
.Lfunc_end37:
	.size	_ZN9rocsparseL28internal_extract_fill_kernelILj1024EhilEEvT2_PKT1_PKS1_PKT0_21rocsparse_index_base_b20rocsparse_diag_type_S4_PS1_PS7_SA_, .Lfunc_end37-_ZN9rocsparseL28internal_extract_fill_kernelILj1024EhilEEvT2_PKT1_PKS1_PKT0_21rocsparse_index_base_b20rocsparse_diag_type_S4_PS1_PS7_SA_
                                        ; -- End function
	.set _ZN9rocsparseL28internal_extract_fill_kernelILj1024EhilEEvT2_PKT1_PKS1_PKT0_21rocsparse_index_base_b20rocsparse_diag_type_S4_PS1_PS7_SA_.num_vgpr, 17
	.set _ZN9rocsparseL28internal_extract_fill_kernelILj1024EhilEEvT2_PKT1_PKS1_PKT0_21rocsparse_index_base_b20rocsparse_diag_type_S4_PS1_PS7_SA_.num_agpr, 0
	.set _ZN9rocsparseL28internal_extract_fill_kernelILj1024EhilEEvT2_PKT1_PKS1_PKT0_21rocsparse_index_base_b20rocsparse_diag_type_S4_PS1_PS7_SA_.numbered_sgpr, 19
	.set _ZN9rocsparseL28internal_extract_fill_kernelILj1024EhilEEvT2_PKT1_PKS1_PKT0_21rocsparse_index_base_b20rocsparse_diag_type_S4_PS1_PS7_SA_.num_named_barrier, 0
	.set _ZN9rocsparseL28internal_extract_fill_kernelILj1024EhilEEvT2_PKT1_PKS1_PKT0_21rocsparse_index_base_b20rocsparse_diag_type_S4_PS1_PS7_SA_.private_seg_size, 0
	.set _ZN9rocsparseL28internal_extract_fill_kernelILj1024EhilEEvT2_PKT1_PKS1_PKT0_21rocsparse_index_base_b20rocsparse_diag_type_S4_PS1_PS7_SA_.uses_vcc, 1
	.set _ZN9rocsparseL28internal_extract_fill_kernelILj1024EhilEEvT2_PKT1_PKS1_PKT0_21rocsparse_index_base_b20rocsparse_diag_type_S4_PS1_PS7_SA_.uses_flat_scratch, 0
	.set _ZN9rocsparseL28internal_extract_fill_kernelILj1024EhilEEvT2_PKT1_PKS1_PKT0_21rocsparse_index_base_b20rocsparse_diag_type_S4_PS1_PS7_SA_.has_dyn_sized_stack, 0
	.set _ZN9rocsparseL28internal_extract_fill_kernelILj1024EhilEEvT2_PKT1_PKS1_PKT0_21rocsparse_index_base_b20rocsparse_diag_type_S4_PS1_PS7_SA_.has_recursion, 0
	.set _ZN9rocsparseL28internal_extract_fill_kernelILj1024EhilEEvT2_PKT1_PKS1_PKT0_21rocsparse_index_base_b20rocsparse_diag_type_S4_PS1_PS7_SA_.has_indirect_call, 0
	.section	.AMDGPU.csdata,"",@progbits
; Kernel info:
; codeLenInByte = 532
; TotalNumSgprs: 23
; NumVgprs: 17
; ScratchSize: 0
; MemoryBound: 0
; FloatMode: 240
; IeeeMode: 1
; LDSByteSize: 0 bytes/workgroup (compile time only)
; SGPRBlocks: 2
; VGPRBlocks: 4
; NumSGPRsForWavesPerEU: 23
; NumVGPRsForWavesPerEU: 17
; Occupancy: 10
; WaveLimiterHint : 0
; COMPUTE_PGM_RSRC2:SCRATCH_EN: 0
; COMPUTE_PGM_RSRC2:USER_SGPR: 6
; COMPUTE_PGM_RSRC2:TRAP_HANDLER: 0
; COMPUTE_PGM_RSRC2:TGID_X_EN: 1
; COMPUTE_PGM_RSRC2:TGID_Y_EN: 0
; COMPUTE_PGM_RSRC2:TGID_Z_EN: 0
; COMPUTE_PGM_RSRC2:TIDIG_COMP_CNT: 0
	.section	.text._ZN9rocsparseL28internal_extract_fill_kernelILj1024EhliEEvT2_PKT1_PKS1_PKT0_21rocsparse_index_base_b20rocsparse_diag_type_S4_PS1_PS7_SA_,"axG",@progbits,_ZN9rocsparseL28internal_extract_fill_kernelILj1024EhliEEvT2_PKT1_PKS1_PKT0_21rocsparse_index_base_b20rocsparse_diag_type_S4_PS1_PS7_SA_,comdat
	.globl	_ZN9rocsparseL28internal_extract_fill_kernelILj1024EhliEEvT2_PKT1_PKS1_PKT0_21rocsparse_index_base_b20rocsparse_diag_type_S4_PS1_PS7_SA_ ; -- Begin function _ZN9rocsparseL28internal_extract_fill_kernelILj1024EhliEEvT2_PKT1_PKS1_PKT0_21rocsparse_index_base_b20rocsparse_diag_type_S4_PS1_PS7_SA_
	.p2align	8
	.type	_ZN9rocsparseL28internal_extract_fill_kernelILj1024EhliEEvT2_PKT1_PKS1_PKT0_21rocsparse_index_base_b20rocsparse_diag_type_S4_PS1_PS7_SA_,@function
_ZN9rocsparseL28internal_extract_fill_kernelILj1024EhliEEvT2_PKT1_PKS1_PKT0_21rocsparse_index_base_b20rocsparse_diag_type_S4_PS1_PS7_SA_: ; @_ZN9rocsparseL28internal_extract_fill_kernelILj1024EhliEEvT2_PKT1_PKS1_PKT0_21rocsparse_index_base_b20rocsparse_diag_type_S4_PS1_PS7_SA_
; %bb.0:
	s_load_dword s0, s[4:5], 0x0
	s_load_dword s2, s[4:5], 0x5c
	v_mov_b32_e32 v5, 0
	s_waitcnt lgkmcnt(0)
	s_ashr_i32 s1, s0, 31
	s_and_b32 s2, s2, 0xffff
	s_mul_i32 s6, s6, s2
	v_add_u32_e32 v4, s6, v0
	v_cmp_gt_i64_e32 vcc, s[0:1], v[4:5]
	s_and_saveexec_b64 s[0:1], vcc
	s_cbranch_execz .LBB38_17
; %bb.1:
	s_load_dwordx2 s[0:1], s[4:5], 0x8
	v_lshlrev_b64 v[5:6], 3, v[4:5]
	s_waitcnt lgkmcnt(0)
	v_mov_b32_e32 v1, s1
	v_add_co_u32_e32 v0, vcc, s0, v5
	v_addc_co_u32_e32 v1, vcc, v1, v6, vcc
	global_load_dwordx4 v[0:3], v[0:1], off
	s_waitcnt vmcnt(0)
	v_cmp_lt_i64_e32 vcc, v[0:1], v[2:3]
	s_and_b64 exec, exec, vcc
	s_cbranch_execz .LBB38_17
; %bb.2:
	s_load_dwordx4 s[0:3], s[4:5], 0x30
	s_mov_b32 s17, 0
	s_waitcnt lgkmcnt(0)
	v_mov_b32_e32 v7, s1
	v_add_co_u32_e32 v5, vcc, s0, v5
	v_addc_co_u32_e32 v6, vcc, v7, v6, vcc
	global_load_dwordx2 v[7:8], v[5:6], off
	s_load_dwordx8 s[8:15], s[4:5], 0x10
	s_load_dwordx2 s[0:1], s[4:5], 0x40
	s_load_dword s18, s[4:5], 0x48
	v_lshlrev_b64 v[5:6], 2, v[0:1]
	s_waitcnt lgkmcnt(0)
	s_bitcmp1_b32 s13, 0
	v_subrev_co_u32_e32 v2, vcc, s12, v2
	s_cselect_b64 s[4:5], -1, 0
	v_subbrev_co_u32_e32 v3, vcc, 0, v3, vcc
	s_xor_b64 s[4:5], s[4:5], -1
	s_mov_b32 s16, s12
	v_subrev_co_u32_e32 v0, vcc, s12, v0
	s_cmp_lg_u32 s14, 1
	v_subbrev_co_u32_e32 v1, vcc, 0, v1, vcc
	s_cselect_b64 s[6:7], -1, 0
	s_lshl_b64 s[14:15], s[16:17], 2
	v_mov_b32_e32 v10, s15
	v_subrev_co_u32_e32 v5, vcc, s14, v5
	v_subb_co_u32_e32 v6, vcc, v6, v10, vcc
	v_mov_b32_e32 v9, s9
	v_add_co_u32_e32 v5, vcc, s8, v5
	v_addc_co_u32_e32 v6, vcc, v9, v6, vcc
	s_mov_b64 s[8:9], 0
	s_waitcnt vmcnt(0)
	v_subrev_co_u32_e32 v7, vcc, s18, v7
	v_subbrev_co_u32_e32 v8, vcc, 0, v8, vcc
	s_branch .LBB38_4
.LBB38_3:                               ;   in Loop: Header=BB38_4 Depth=1
	s_or_b64 exec, exec, s[16:17]
	v_add_co_u32_e32 v0, vcc, 1, v0
	v_addc_co_u32_e32 v1, vcc, 0, v1, vcc
	v_cmp_ge_i64_e32 vcc, v[0:1], v[2:3]
	s_or_b64 s[8:9], vcc, s[8:9]
	v_add_co_u32_e32 v5, vcc, 4, v5
	v_addc_co_u32_e32 v6, vcc, 0, v6, vcc
	s_andn2_b64 exec, exec, s[8:9]
	s_cbranch_execz .LBB38_17
.LBB38_4:                               ; =>This Inner Loop Header: Depth=1
	global_load_dword v9, v[5:6], off
	s_and_b64 vcc, exec, s[4:5]
	s_mov_b64 s[16:17], -1
                                        ; implicit-def: $sgpr14_sgpr15
	s_waitcnt vmcnt(0)
	v_subrev_u32_e32 v9, s12, v9
	s_cbranch_vccz .LBB38_10
; %bb.5:                                ;   in Loop: Header=BB38_4 Depth=1
	s_and_b64 vcc, exec, s[6:7]
                                        ; implicit-def: $sgpr14_sgpr15
	s_cbranch_vccz .LBB38_7
; %bb.6:                                ;   in Loop: Header=BB38_4 Depth=1
	v_cmp_le_i32_e64 s[14:15], v4, v9
	s_mov_b64 s[16:17], 0
.LBB38_7:                               ;   in Loop: Header=BB38_4 Depth=1
	s_andn2_b64 vcc, exec, s[16:17]
	s_cbranch_vccnz .LBB38_9
; %bb.8:                                ;   in Loop: Header=BB38_4 Depth=1
	v_cmp_lt_i32_e32 vcc, v4, v9
	s_andn2_b64 s[14:15], s[14:15], exec
	s_and_b64 s[16:17], vcc, exec
	s_or_b64 s[14:15], s[14:15], s[16:17]
.LBB38_9:                               ;   in Loop: Header=BB38_4 Depth=1
	s_mov_b64 s[16:17], 0
.LBB38_10:                              ;   in Loop: Header=BB38_4 Depth=1
	s_andn2_b64 vcc, exec, s[16:17]
	s_cbranch_vccnz .LBB38_15
; %bb.11:                               ;   in Loop: Header=BB38_4 Depth=1
	s_mov_b64 s[16:17], -1
	s_and_b64 vcc, exec, s[6:7]
                                        ; implicit-def: $sgpr14_sgpr15
	s_cbranch_vccz .LBB38_13
; %bb.12:                               ;   in Loop: Header=BB38_4 Depth=1
	v_cmp_ge_i32_e64 s[14:15], v4, v9
	s_mov_b64 s[16:17], 0
.LBB38_13:                              ;   in Loop: Header=BB38_4 Depth=1
	s_andn2_b64 vcc, exec, s[16:17]
	s_cbranch_vccnz .LBB38_15
; %bb.14:                               ;   in Loop: Header=BB38_4 Depth=1
	v_cmp_gt_i32_e32 vcc, v4, v9
	s_andn2_b64 s[14:15], s[14:15], exec
	s_and_b64 s[16:17], vcc, exec
	s_or_b64 s[14:15], s[14:15], s[16:17]
.LBB38_15:                              ;   in Loop: Header=BB38_4 Depth=1
	s_and_saveexec_b64 s[16:17], s[14:15]
	s_cbranch_execz .LBB38_3
; %bb.16:                               ;   in Loop: Header=BB38_4 Depth=1
	v_mov_b32_e32 v11, s11
	v_add_co_u32_e32 v10, vcc, s10, v0
	v_addc_co_u32_e32 v11, vcc, v11, v1, vcc
	global_load_ubyte v14, v[10:11], off
	v_add_co_u32_e32 v10, vcc, 1, v7
	v_addc_co_u32_e32 v11, vcc, 0, v8, vcc
	v_mov_b32_e32 v15, s1
	v_lshlrev_b64 v[12:13], 2, v[7:8]
	v_add_co_u32_e32 v7, vcc, s0, v7
	v_addc_co_u32_e32 v8, vcc, v15, v8, vcc
	v_mov_b32_e32 v16, s3
	v_add_co_u32_e32 v12, vcc, s2, v12
	v_add_u32_e32 v9, s18, v9
	v_addc_co_u32_e32 v13, vcc, v16, v13, vcc
	global_store_dword v[12:13], v9, off
	s_waitcnt vmcnt(1)
	global_store_byte v[7:8], v14, off
	v_mov_b32_e32 v7, v10
	v_mov_b32_e32 v8, v11
	s_branch .LBB38_3
.LBB38_17:
	s_endpgm
	.section	.rodata,"a",@progbits
	.p2align	6, 0x0
	.amdhsa_kernel _ZN9rocsparseL28internal_extract_fill_kernelILj1024EhliEEvT2_PKT1_PKS1_PKT0_21rocsparse_index_base_b20rocsparse_diag_type_S4_PS1_PS7_SA_
		.amdhsa_group_segment_fixed_size 0
		.amdhsa_private_segment_fixed_size 0
		.amdhsa_kernarg_size 336
		.amdhsa_user_sgpr_count 6
		.amdhsa_user_sgpr_private_segment_buffer 1
		.amdhsa_user_sgpr_dispatch_ptr 0
		.amdhsa_user_sgpr_queue_ptr 0
		.amdhsa_user_sgpr_kernarg_segment_ptr 1
		.amdhsa_user_sgpr_dispatch_id 0
		.amdhsa_user_sgpr_flat_scratch_init 0
		.amdhsa_user_sgpr_private_segment_size 0
		.amdhsa_uses_dynamic_stack 0
		.amdhsa_system_sgpr_private_segment_wavefront_offset 0
		.amdhsa_system_sgpr_workgroup_id_x 1
		.amdhsa_system_sgpr_workgroup_id_y 0
		.amdhsa_system_sgpr_workgroup_id_z 0
		.amdhsa_system_sgpr_workgroup_info 0
		.amdhsa_system_vgpr_workitem_id 0
		.amdhsa_next_free_vgpr 17
		.amdhsa_next_free_sgpr 19
		.amdhsa_reserve_vcc 1
		.amdhsa_reserve_flat_scratch 0
		.amdhsa_float_round_mode_32 0
		.amdhsa_float_round_mode_16_64 0
		.amdhsa_float_denorm_mode_32 3
		.amdhsa_float_denorm_mode_16_64 3
		.amdhsa_dx10_clamp 1
		.amdhsa_ieee_mode 1
		.amdhsa_fp16_overflow 0
		.amdhsa_exception_fp_ieee_invalid_op 0
		.amdhsa_exception_fp_denorm_src 0
		.amdhsa_exception_fp_ieee_div_zero 0
		.amdhsa_exception_fp_ieee_overflow 0
		.amdhsa_exception_fp_ieee_underflow 0
		.amdhsa_exception_fp_ieee_inexact 0
		.amdhsa_exception_int_div_zero 0
	.end_amdhsa_kernel
	.section	.text._ZN9rocsparseL28internal_extract_fill_kernelILj1024EhliEEvT2_PKT1_PKS1_PKT0_21rocsparse_index_base_b20rocsparse_diag_type_S4_PS1_PS7_SA_,"axG",@progbits,_ZN9rocsparseL28internal_extract_fill_kernelILj1024EhliEEvT2_PKT1_PKS1_PKT0_21rocsparse_index_base_b20rocsparse_diag_type_S4_PS1_PS7_SA_,comdat
.Lfunc_end38:
	.size	_ZN9rocsparseL28internal_extract_fill_kernelILj1024EhliEEvT2_PKT1_PKS1_PKT0_21rocsparse_index_base_b20rocsparse_diag_type_S4_PS1_PS7_SA_, .Lfunc_end38-_ZN9rocsparseL28internal_extract_fill_kernelILj1024EhliEEvT2_PKT1_PKS1_PKT0_21rocsparse_index_base_b20rocsparse_diag_type_S4_PS1_PS7_SA_
                                        ; -- End function
	.set _ZN9rocsparseL28internal_extract_fill_kernelILj1024EhliEEvT2_PKT1_PKS1_PKT0_21rocsparse_index_base_b20rocsparse_diag_type_S4_PS1_PS7_SA_.num_vgpr, 17
	.set _ZN9rocsparseL28internal_extract_fill_kernelILj1024EhliEEvT2_PKT1_PKS1_PKT0_21rocsparse_index_base_b20rocsparse_diag_type_S4_PS1_PS7_SA_.num_agpr, 0
	.set _ZN9rocsparseL28internal_extract_fill_kernelILj1024EhliEEvT2_PKT1_PKS1_PKT0_21rocsparse_index_base_b20rocsparse_diag_type_S4_PS1_PS7_SA_.numbered_sgpr, 19
	.set _ZN9rocsparseL28internal_extract_fill_kernelILj1024EhliEEvT2_PKT1_PKS1_PKT0_21rocsparse_index_base_b20rocsparse_diag_type_S4_PS1_PS7_SA_.num_named_barrier, 0
	.set _ZN9rocsparseL28internal_extract_fill_kernelILj1024EhliEEvT2_PKT1_PKS1_PKT0_21rocsparse_index_base_b20rocsparse_diag_type_S4_PS1_PS7_SA_.private_seg_size, 0
	.set _ZN9rocsparseL28internal_extract_fill_kernelILj1024EhliEEvT2_PKT1_PKS1_PKT0_21rocsparse_index_base_b20rocsparse_diag_type_S4_PS1_PS7_SA_.uses_vcc, 1
	.set _ZN9rocsparseL28internal_extract_fill_kernelILj1024EhliEEvT2_PKT1_PKS1_PKT0_21rocsparse_index_base_b20rocsparse_diag_type_S4_PS1_PS7_SA_.uses_flat_scratch, 0
	.set _ZN9rocsparseL28internal_extract_fill_kernelILj1024EhliEEvT2_PKT1_PKS1_PKT0_21rocsparse_index_base_b20rocsparse_diag_type_S4_PS1_PS7_SA_.has_dyn_sized_stack, 0
	.set _ZN9rocsparseL28internal_extract_fill_kernelILj1024EhliEEvT2_PKT1_PKS1_PKT0_21rocsparse_index_base_b20rocsparse_diag_type_S4_PS1_PS7_SA_.has_recursion, 0
	.set _ZN9rocsparseL28internal_extract_fill_kernelILj1024EhliEEvT2_PKT1_PKS1_PKT0_21rocsparse_index_base_b20rocsparse_diag_type_S4_PS1_PS7_SA_.has_indirect_call, 0
	.section	.AMDGPU.csdata,"",@progbits
; Kernel info:
; codeLenInByte = 548
; TotalNumSgprs: 23
; NumVgprs: 17
; ScratchSize: 0
; MemoryBound: 0
; FloatMode: 240
; IeeeMode: 1
; LDSByteSize: 0 bytes/workgroup (compile time only)
; SGPRBlocks: 2
; VGPRBlocks: 4
; NumSGPRsForWavesPerEU: 23
; NumVGPRsForWavesPerEU: 17
; Occupancy: 10
; WaveLimiterHint : 0
; COMPUTE_PGM_RSRC2:SCRATCH_EN: 0
; COMPUTE_PGM_RSRC2:USER_SGPR: 6
; COMPUTE_PGM_RSRC2:TRAP_HANDLER: 0
; COMPUTE_PGM_RSRC2:TGID_X_EN: 1
; COMPUTE_PGM_RSRC2:TGID_Y_EN: 0
; COMPUTE_PGM_RSRC2:TGID_Z_EN: 0
; COMPUTE_PGM_RSRC2:TIDIG_COMP_CNT: 0
	.section	.text._ZN9rocsparseL28internal_extract_fill_kernelILj1024EhllEEvT2_PKT1_PKS1_PKT0_21rocsparse_index_base_b20rocsparse_diag_type_S4_PS1_PS7_SA_,"axG",@progbits,_ZN9rocsparseL28internal_extract_fill_kernelILj1024EhllEEvT2_PKT1_PKS1_PKT0_21rocsparse_index_base_b20rocsparse_diag_type_S4_PS1_PS7_SA_,comdat
	.globl	_ZN9rocsparseL28internal_extract_fill_kernelILj1024EhllEEvT2_PKT1_PKS1_PKT0_21rocsparse_index_base_b20rocsparse_diag_type_S4_PS1_PS7_SA_ ; -- Begin function _ZN9rocsparseL28internal_extract_fill_kernelILj1024EhllEEvT2_PKT1_PKS1_PKT0_21rocsparse_index_base_b20rocsparse_diag_type_S4_PS1_PS7_SA_
	.p2align	8
	.type	_ZN9rocsparseL28internal_extract_fill_kernelILj1024EhllEEvT2_PKT1_PKS1_PKT0_21rocsparse_index_base_b20rocsparse_diag_type_S4_PS1_PS7_SA_,@function
_ZN9rocsparseL28internal_extract_fill_kernelILj1024EhllEEvT2_PKT1_PKS1_PKT0_21rocsparse_index_base_b20rocsparse_diag_type_S4_PS1_PS7_SA_: ; @_ZN9rocsparseL28internal_extract_fill_kernelILj1024EhllEEvT2_PKT1_PKS1_PKT0_21rocsparse_index_base_b20rocsparse_diag_type_S4_PS1_PS7_SA_
; %bb.0:
	s_load_dword s2, s[4:5], 0x5c
	s_load_dwordx2 s[0:1], s[4:5], 0x0
	v_mov_b32_e32 v5, 0
	s_waitcnt lgkmcnt(0)
	s_and_b32 s2, s2, 0xffff
	s_mul_i32 s6, s6, s2
	v_add_u32_e32 v4, s6, v0
	v_cmp_gt_i64_e32 vcc, s[0:1], v[4:5]
	s_and_saveexec_b64 s[0:1], vcc
	s_cbranch_execz .LBB39_17
; %bb.1:
	s_load_dwordx2 s[0:1], s[4:5], 0x8
	v_lshlrev_b64 v[6:7], 3, v[4:5]
	s_waitcnt lgkmcnt(0)
	v_mov_b32_e32 v1, s1
	v_add_co_u32_e32 v0, vcc, s0, v6
	v_addc_co_u32_e32 v1, vcc, v1, v7, vcc
	global_load_dwordx4 v[0:3], v[0:1], off
	s_waitcnt vmcnt(0)
	v_cmp_lt_i64_e32 vcc, v[0:1], v[2:3]
	s_and_b64 exec, exec, vcc
	s_cbranch_execz .LBB39_17
; %bb.2:
	s_load_dwordx4 s[0:3], s[4:5], 0x30
	s_waitcnt lgkmcnt(0)
	v_mov_b32_e32 v8, s1
	v_add_co_u32_e32 v6, vcc, s0, v6
	v_addc_co_u32_e32 v7, vcc, v8, v7, vcc
	global_load_dwordx2 v[8:9], v[6:7], off
	s_load_dwordx8 s[8:15], s[4:5], 0x10
	s_load_dwordx2 s[6:7], s[4:5], 0x40
	s_load_dword s20, s[4:5], 0x48
	v_lshlrev_b64 v[6:7], 3, v[0:1]
	s_mov_b32 s5, 0
	s_waitcnt lgkmcnt(0)
	v_subrev_co_u32_e32 v2, vcc, s12, v2
	s_bitcmp1_b32 s13, 0
	v_subbrev_co_u32_e32 v3, vcc, 0, v3, vcc
	s_cselect_b64 s[0:1], -1, 0
	s_mov_b32 s4, s12
	v_subrev_co_u32_e32 v0, vcc, s12, v0
	s_xor_b64 s[12:13], s[0:1], -1
	s_cmp_lg_u32 s14, 1
	v_subbrev_co_u32_e32 v1, vcc, 0, v1, vcc
	s_cselect_b64 s[14:15], -1, 0
	s_lshl_b64 s[0:1], s[4:5], 3
	v_mov_b32_e32 v11, s1
	v_subrev_co_u32_e32 v6, vcc, s0, v6
	v_subb_co_u32_e32 v7, vcc, v7, v11, vcc
	v_mov_b32_e32 v10, s9
	v_add_co_u32_e32 v6, vcc, s8, v6
	v_addc_co_u32_e32 v7, vcc, v10, v7, vcc
	s_mov_b64 s[8:9], 0
	s_waitcnt vmcnt(0)
	v_subrev_co_u32_e32 v8, vcc, s20, v8
	v_subbrev_co_u32_e32 v9, vcc, 0, v9, vcc
	s_branch .LBB39_4
.LBB39_3:                               ;   in Loop: Header=BB39_4 Depth=1
	s_or_b64 exec, exec, s[0:1]
	v_add_co_u32_e32 v0, vcc, 1, v0
	v_addc_co_u32_e32 v1, vcc, 0, v1, vcc
	v_cmp_ge_i64_e32 vcc, v[0:1], v[2:3]
	s_or_b64 s[8:9], vcc, s[8:9]
	v_add_co_u32_e32 v6, vcc, 8, v6
	v_addc_co_u32_e32 v7, vcc, 0, v7, vcc
	s_andn2_b64 exec, exec, s[8:9]
	s_cbranch_execz .LBB39_17
.LBB39_4:                               ; =>This Inner Loop Header: Depth=1
	global_load_dwordx2 v[10:11], v[6:7], off
	s_and_b64 vcc, exec, s[12:13]
	s_mov_b64 s[18:19], -1
                                        ; implicit-def: $sgpr16_sgpr17
	s_waitcnt vmcnt(0)
	v_subrev_co_u32_e64 v10, s[0:1], s4, v10
	v_subbrev_co_u32_e64 v11, s[0:1], 0, v11, s[0:1]
	s_cbranch_vccz .LBB39_10
; %bb.5:                                ;   in Loop: Header=BB39_4 Depth=1
	s_mov_b64 s[0:1], -1
	s_and_b64 vcc, exec, s[14:15]
                                        ; implicit-def: $sgpr16_sgpr17
	s_cbranch_vccz .LBB39_7
; %bb.6:                                ;   in Loop: Header=BB39_4 Depth=1
	v_cmp_ge_i64_e64 s[16:17], v[10:11], v[4:5]
	s_mov_b64 s[0:1], 0
.LBB39_7:                               ;   in Loop: Header=BB39_4 Depth=1
	s_andn2_b64 vcc, exec, s[0:1]
	s_cbranch_vccnz .LBB39_9
; %bb.8:                                ;   in Loop: Header=BB39_4 Depth=1
	v_cmp_gt_i64_e32 vcc, v[10:11], v[4:5]
	s_andn2_b64 s[0:1], s[16:17], exec
	s_and_b64 s[16:17], vcc, exec
	s_or_b64 s[16:17], s[0:1], s[16:17]
.LBB39_9:                               ;   in Loop: Header=BB39_4 Depth=1
	s_mov_b64 s[18:19], 0
.LBB39_10:                              ;   in Loop: Header=BB39_4 Depth=1
	s_andn2_b64 vcc, exec, s[18:19]
	s_cbranch_vccnz .LBB39_15
; %bb.11:                               ;   in Loop: Header=BB39_4 Depth=1
	s_mov_b64 s[0:1], -1
	s_and_b64 vcc, exec, s[14:15]
                                        ; implicit-def: $sgpr16_sgpr17
	s_cbranch_vccz .LBB39_13
; %bb.12:                               ;   in Loop: Header=BB39_4 Depth=1
	v_cmp_le_i64_e64 s[16:17], v[10:11], v[4:5]
	s_mov_b64 s[0:1], 0
.LBB39_13:                              ;   in Loop: Header=BB39_4 Depth=1
	s_andn2_b64 vcc, exec, s[0:1]
	s_cbranch_vccnz .LBB39_15
; %bb.14:                               ;   in Loop: Header=BB39_4 Depth=1
	v_cmp_lt_i64_e32 vcc, v[10:11], v[4:5]
	s_andn2_b64 s[0:1], s[16:17], exec
	s_and_b64 s[16:17], vcc, exec
	s_or_b64 s[16:17], s[0:1], s[16:17]
.LBB39_15:                              ;   in Loop: Header=BB39_4 Depth=1
	s_and_saveexec_b64 s[0:1], s[16:17]
	s_cbranch_execz .LBB39_3
; %bb.16:                               ;   in Loop: Header=BB39_4 Depth=1
	v_mov_b32_e32 v13, s11
	v_add_co_u32_e32 v12, vcc, s10, v0
	v_addc_co_u32_e32 v13, vcc, v13, v1, vcc
	global_load_ubyte v16, v[12:13], off
	v_add_co_u32_e32 v12, vcc, 1, v8
	v_addc_co_u32_e32 v13, vcc, 0, v9, vcc
	v_add_co_u32_e32 v10, vcc, s20, v10
	v_addc_co_u32_e32 v11, vcc, 0, v11, vcc
	v_mov_b32_e32 v17, s7
	v_lshlrev_b64 v[14:15], 3, v[8:9]
	v_add_co_u32_e32 v8, vcc, s6, v8
	v_addc_co_u32_e32 v9, vcc, v17, v9, vcc
	v_mov_b32_e32 v18, s3
	v_add_co_u32_e32 v14, vcc, s2, v14
	v_addc_co_u32_e32 v15, vcc, v18, v15, vcc
	global_store_dwordx2 v[14:15], v[10:11], off
	s_waitcnt vmcnt(1)
	global_store_byte v[8:9], v16, off
	v_mov_b32_e32 v8, v12
	v_mov_b32_e32 v9, v13
	s_branch .LBB39_3
.LBB39_17:
	s_endpgm
	.section	.rodata,"a",@progbits
	.p2align	6, 0x0
	.amdhsa_kernel _ZN9rocsparseL28internal_extract_fill_kernelILj1024EhllEEvT2_PKT1_PKS1_PKT0_21rocsparse_index_base_b20rocsparse_diag_type_S4_PS1_PS7_SA_
		.amdhsa_group_segment_fixed_size 0
		.amdhsa_private_segment_fixed_size 0
		.amdhsa_kernarg_size 336
		.amdhsa_user_sgpr_count 6
		.amdhsa_user_sgpr_private_segment_buffer 1
		.amdhsa_user_sgpr_dispatch_ptr 0
		.amdhsa_user_sgpr_queue_ptr 0
		.amdhsa_user_sgpr_kernarg_segment_ptr 1
		.amdhsa_user_sgpr_dispatch_id 0
		.amdhsa_user_sgpr_flat_scratch_init 0
		.amdhsa_user_sgpr_private_segment_size 0
		.amdhsa_uses_dynamic_stack 0
		.amdhsa_system_sgpr_private_segment_wavefront_offset 0
		.amdhsa_system_sgpr_workgroup_id_x 1
		.amdhsa_system_sgpr_workgroup_id_y 0
		.amdhsa_system_sgpr_workgroup_id_z 0
		.amdhsa_system_sgpr_workgroup_info 0
		.amdhsa_system_vgpr_workitem_id 0
		.amdhsa_next_free_vgpr 19
		.amdhsa_next_free_sgpr 21
		.amdhsa_reserve_vcc 1
		.amdhsa_reserve_flat_scratch 0
		.amdhsa_float_round_mode_32 0
		.amdhsa_float_round_mode_16_64 0
		.amdhsa_float_denorm_mode_32 3
		.amdhsa_float_denorm_mode_16_64 3
		.amdhsa_dx10_clamp 1
		.amdhsa_ieee_mode 1
		.amdhsa_fp16_overflow 0
		.amdhsa_exception_fp_ieee_invalid_op 0
		.amdhsa_exception_fp_denorm_src 0
		.amdhsa_exception_fp_ieee_div_zero 0
		.amdhsa_exception_fp_ieee_overflow 0
		.amdhsa_exception_fp_ieee_underflow 0
		.amdhsa_exception_fp_ieee_inexact 0
		.amdhsa_exception_int_div_zero 0
	.end_amdhsa_kernel
	.section	.text._ZN9rocsparseL28internal_extract_fill_kernelILj1024EhllEEvT2_PKT1_PKS1_PKT0_21rocsparse_index_base_b20rocsparse_diag_type_S4_PS1_PS7_SA_,"axG",@progbits,_ZN9rocsparseL28internal_extract_fill_kernelILj1024EhllEEvT2_PKT1_PKS1_PKT0_21rocsparse_index_base_b20rocsparse_diag_type_S4_PS1_PS7_SA_,comdat
.Lfunc_end39:
	.size	_ZN9rocsparseL28internal_extract_fill_kernelILj1024EhllEEvT2_PKT1_PKS1_PKT0_21rocsparse_index_base_b20rocsparse_diag_type_S4_PS1_PS7_SA_, .Lfunc_end39-_ZN9rocsparseL28internal_extract_fill_kernelILj1024EhllEEvT2_PKT1_PKS1_PKT0_21rocsparse_index_base_b20rocsparse_diag_type_S4_PS1_PS7_SA_
                                        ; -- End function
	.set _ZN9rocsparseL28internal_extract_fill_kernelILj1024EhllEEvT2_PKT1_PKS1_PKT0_21rocsparse_index_base_b20rocsparse_diag_type_S4_PS1_PS7_SA_.num_vgpr, 19
	.set _ZN9rocsparseL28internal_extract_fill_kernelILj1024EhllEEvT2_PKT1_PKS1_PKT0_21rocsparse_index_base_b20rocsparse_diag_type_S4_PS1_PS7_SA_.num_agpr, 0
	.set _ZN9rocsparseL28internal_extract_fill_kernelILj1024EhllEEvT2_PKT1_PKS1_PKT0_21rocsparse_index_base_b20rocsparse_diag_type_S4_PS1_PS7_SA_.numbered_sgpr, 21
	.set _ZN9rocsparseL28internal_extract_fill_kernelILj1024EhllEEvT2_PKT1_PKS1_PKT0_21rocsparse_index_base_b20rocsparse_diag_type_S4_PS1_PS7_SA_.num_named_barrier, 0
	.set _ZN9rocsparseL28internal_extract_fill_kernelILj1024EhllEEvT2_PKT1_PKS1_PKT0_21rocsparse_index_base_b20rocsparse_diag_type_S4_PS1_PS7_SA_.private_seg_size, 0
	.set _ZN9rocsparseL28internal_extract_fill_kernelILj1024EhllEEvT2_PKT1_PKS1_PKT0_21rocsparse_index_base_b20rocsparse_diag_type_S4_PS1_PS7_SA_.uses_vcc, 1
	.set _ZN9rocsparseL28internal_extract_fill_kernelILj1024EhllEEvT2_PKT1_PKS1_PKT0_21rocsparse_index_base_b20rocsparse_diag_type_S4_PS1_PS7_SA_.uses_flat_scratch, 0
	.set _ZN9rocsparseL28internal_extract_fill_kernelILj1024EhllEEvT2_PKT1_PKS1_PKT0_21rocsparse_index_base_b20rocsparse_diag_type_S4_PS1_PS7_SA_.has_dyn_sized_stack, 0
	.set _ZN9rocsparseL28internal_extract_fill_kernelILj1024EhllEEvT2_PKT1_PKS1_PKT0_21rocsparse_index_base_b20rocsparse_diag_type_S4_PS1_PS7_SA_.has_recursion, 0
	.set _ZN9rocsparseL28internal_extract_fill_kernelILj1024EhllEEvT2_PKT1_PKS1_PKT0_21rocsparse_index_base_b20rocsparse_diag_type_S4_PS1_PS7_SA_.has_indirect_call, 0
	.section	.AMDGPU.csdata,"",@progbits
; Kernel info:
; codeLenInByte = 564
; TotalNumSgprs: 25
; NumVgprs: 19
; ScratchSize: 0
; MemoryBound: 0
; FloatMode: 240
; IeeeMode: 1
; LDSByteSize: 0 bytes/workgroup (compile time only)
; SGPRBlocks: 3
; VGPRBlocks: 4
; NumSGPRsForWavesPerEU: 25
; NumVGPRsForWavesPerEU: 19
; Occupancy: 10
; WaveLimiterHint : 0
; COMPUTE_PGM_RSRC2:SCRATCH_EN: 0
; COMPUTE_PGM_RSRC2:USER_SGPR: 6
; COMPUTE_PGM_RSRC2:TRAP_HANDLER: 0
; COMPUTE_PGM_RSRC2:TGID_X_EN: 1
; COMPUTE_PGM_RSRC2:TGID_Y_EN: 0
; COMPUTE_PGM_RSRC2:TGID_Z_EN: 0
; COMPUTE_PGM_RSRC2:TIDIG_COMP_CNT: 0
	.section	.text._ZN9rocsparseL28internal_extract_fill_kernelILj1024EiiiEEvT2_PKT1_PKS1_PKT0_21rocsparse_index_base_b20rocsparse_diag_type_S4_PS1_PS7_SA_,"axG",@progbits,_ZN9rocsparseL28internal_extract_fill_kernelILj1024EiiiEEvT2_PKT1_PKS1_PKT0_21rocsparse_index_base_b20rocsparse_diag_type_S4_PS1_PS7_SA_,comdat
	.globl	_ZN9rocsparseL28internal_extract_fill_kernelILj1024EiiiEEvT2_PKT1_PKS1_PKT0_21rocsparse_index_base_b20rocsparse_diag_type_S4_PS1_PS7_SA_ ; -- Begin function _ZN9rocsparseL28internal_extract_fill_kernelILj1024EiiiEEvT2_PKT1_PKS1_PKT0_21rocsparse_index_base_b20rocsparse_diag_type_S4_PS1_PS7_SA_
	.p2align	8
	.type	_ZN9rocsparseL28internal_extract_fill_kernelILj1024EiiiEEvT2_PKT1_PKS1_PKT0_21rocsparse_index_base_b20rocsparse_diag_type_S4_PS1_PS7_SA_,@function
_ZN9rocsparseL28internal_extract_fill_kernelILj1024EiiiEEvT2_PKT1_PKS1_PKT0_21rocsparse_index_base_b20rocsparse_diag_type_S4_PS1_PS7_SA_: ; @_ZN9rocsparseL28internal_extract_fill_kernelILj1024EiiiEEvT2_PKT1_PKS1_PKT0_21rocsparse_index_base_b20rocsparse_diag_type_S4_PS1_PS7_SA_
; %bb.0:
	s_load_dword s0, s[4:5], 0x5c
	s_load_dword s1, s[4:5], 0x0
	s_waitcnt lgkmcnt(0)
	s_and_b32 s0, s0, 0xffff
	s_mul_i32 s6, s6, s0
	v_add_u32_e32 v0, s6, v0
	v_cmp_gt_i32_e32 vcc, s1, v0
	s_and_saveexec_b64 s[0:1], vcc
	s_cbranch_execz .LBB40_17
; %bb.1:
	s_load_dwordx2 s[0:1], s[4:5], 0x8
	v_ashrrev_i32_e32 v1, 31, v0
	v_lshlrev_b64 v[3:4], 2, v[0:1]
	s_waitcnt lgkmcnt(0)
	v_mov_b32_e32 v2, s1
	v_add_co_u32_e32 v1, vcc, s0, v3
	v_addc_co_u32_e32 v2, vcc, v2, v4, vcc
	global_load_dwordx2 v[1:2], v[1:2], off
	s_waitcnt vmcnt(0)
	v_cmp_lt_i32_e32 vcc, v1, v2
	s_and_b64 exec, exec, vcc
	s_cbranch_execz .LBB40_17
; %bb.2:
	s_load_dwordx4 s[0:3], s[4:5], 0x30
	s_waitcnt lgkmcnt(0)
	v_mov_b32_e32 v5, s1
	v_add_co_u32_e32 v3, vcc, s0, v3
	v_addc_co_u32_e32 v4, vcc, v5, v4, vcc
	global_load_dword v6, v[3:4], off
	s_load_dwordx8 s[8:15], s[4:5], 0x10
	s_load_dwordx2 s[0:1], s[4:5], 0x40
	s_load_dword s16, s[4:5], 0x48
	s_waitcnt lgkmcnt(0)
	v_subrev_u32_e32 v1, s12, v1
	v_subrev_u32_e32 v8, s12, v2
	v_ashrrev_i32_e32 v2, 31, v1
	v_lshlrev_b64 v[4:5], 2, v[1:2]
	s_bitcmp1_b32 s13, 0
	v_mov_b32_e32 v3, s9
	s_cselect_b64 s[4:5], -1, 0
	v_add_co_u32_e32 v2, vcc, s8, v4
	s_xor_b64 s[4:5], s[4:5], -1
	v_addc_co_u32_e32 v3, vcc, v3, v5, vcc
	v_mov_b32_e32 v7, s11
	s_cmp_lg_u32 s14, 1
	v_add_co_u32_e32 v4, vcc, s10, v4
	s_cselect_b64 s[6:7], -1, 0
	v_addc_co_u32_e32 v5, vcc, v7, v5, vcc
	s_mov_b64 s[8:9], 0
	s_waitcnt vmcnt(0)
	v_subrev_u32_e32 v6, s16, v6
	s_branch .LBB40_4
.LBB40_3:                               ;   in Loop: Header=BB40_4 Depth=1
	s_or_b64 exec, exec, s[14:15]
	v_add_co_u32_e32 v2, vcc, 4, v2
	v_add_u32_e32 v1, 1, v1
	v_addc_co_u32_e32 v3, vcc, 0, v3, vcc
	v_cmp_ge_i32_e32 vcc, v1, v8
	s_or_b64 s[8:9], vcc, s[8:9]
	v_add_co_u32_e32 v4, vcc, 4, v4
	v_addc_co_u32_e32 v5, vcc, 0, v5, vcc
	s_andn2_b64 exec, exec, s[8:9]
	s_cbranch_execz .LBB40_17
.LBB40_4:                               ; =>This Inner Loop Header: Depth=1
	global_load_dword v7, v[2:3], off
	s_and_b64 vcc, exec, s[4:5]
	s_mov_b64 s[14:15], -1
                                        ; implicit-def: $sgpr10_sgpr11
	s_waitcnt vmcnt(0)
	v_subrev_u32_e32 v9, s12, v7
	s_cbranch_vccz .LBB40_10
; %bb.5:                                ;   in Loop: Header=BB40_4 Depth=1
	s_and_b64 vcc, exec, s[6:7]
                                        ; implicit-def: $sgpr10_sgpr11
	s_cbranch_vccz .LBB40_7
; %bb.6:                                ;   in Loop: Header=BB40_4 Depth=1
	v_cmp_le_i32_e64 s[10:11], v0, v9
	s_mov_b64 s[14:15], 0
.LBB40_7:                               ;   in Loop: Header=BB40_4 Depth=1
	s_andn2_b64 vcc, exec, s[14:15]
	s_cbranch_vccnz .LBB40_9
; %bb.8:                                ;   in Loop: Header=BB40_4 Depth=1
	v_cmp_lt_i32_e32 vcc, v0, v9
	s_andn2_b64 s[10:11], s[10:11], exec
	s_and_b64 s[14:15], vcc, exec
	s_or_b64 s[10:11], s[10:11], s[14:15]
.LBB40_9:                               ;   in Loop: Header=BB40_4 Depth=1
	s_mov_b64 s[14:15], 0
.LBB40_10:                              ;   in Loop: Header=BB40_4 Depth=1
	s_andn2_b64 vcc, exec, s[14:15]
	s_cbranch_vccnz .LBB40_15
; %bb.11:                               ;   in Loop: Header=BB40_4 Depth=1
	s_mov_b64 s[14:15], -1
	s_and_b64 vcc, exec, s[6:7]
                                        ; implicit-def: $sgpr10_sgpr11
	s_cbranch_vccz .LBB40_13
; %bb.12:                               ;   in Loop: Header=BB40_4 Depth=1
	v_cmp_ge_i32_e64 s[10:11], v0, v9
	s_mov_b64 s[14:15], 0
.LBB40_13:                              ;   in Loop: Header=BB40_4 Depth=1
	s_andn2_b64 vcc, exec, s[14:15]
	s_cbranch_vccnz .LBB40_15
; %bb.14:                               ;   in Loop: Header=BB40_4 Depth=1
	v_cmp_gt_i32_e32 vcc, v0, v9
	s_andn2_b64 s[10:11], s[10:11], exec
	s_and_b64 s[14:15], vcc, exec
	s_or_b64 s[10:11], s[10:11], s[14:15]
.LBB40_15:                              ;   in Loop: Header=BB40_4 Depth=1
	s_and_saveexec_b64 s[14:15], s[10:11]
	s_cbranch_execz .LBB40_3
; %bb.16:                               ;   in Loop: Header=BB40_4 Depth=1
	global_load_dword v11, v[4:5], off
	v_ashrrev_i32_e32 v7, 31, v6
	v_add_u32_e32 v12, 1, v6
	v_lshlrev_b64 v[6:7], 2, v[6:7]
	v_mov_b32_e32 v10, s1
	v_add_u32_e32 v14, s16, v9
	v_add_co_u32_e32 v9, vcc, s0, v6
	v_addc_co_u32_e32 v10, vcc, v10, v7, vcc
	v_mov_b32_e32 v13, s3
	v_add_co_u32_e32 v6, vcc, s2, v6
	v_addc_co_u32_e32 v7, vcc, v13, v7, vcc
	global_store_dword v[6:7], v14, off
	s_waitcnt vmcnt(1)
	global_store_dword v[9:10], v11, off
	v_mov_b32_e32 v6, v12
	s_branch .LBB40_3
.LBB40_17:
	s_endpgm
	.section	.rodata,"a",@progbits
	.p2align	6, 0x0
	.amdhsa_kernel _ZN9rocsparseL28internal_extract_fill_kernelILj1024EiiiEEvT2_PKT1_PKS1_PKT0_21rocsparse_index_base_b20rocsparse_diag_type_S4_PS1_PS7_SA_
		.amdhsa_group_segment_fixed_size 0
		.amdhsa_private_segment_fixed_size 0
		.amdhsa_kernarg_size 336
		.amdhsa_user_sgpr_count 6
		.amdhsa_user_sgpr_private_segment_buffer 1
		.amdhsa_user_sgpr_dispatch_ptr 0
		.amdhsa_user_sgpr_queue_ptr 0
		.amdhsa_user_sgpr_kernarg_segment_ptr 1
		.amdhsa_user_sgpr_dispatch_id 0
		.amdhsa_user_sgpr_flat_scratch_init 0
		.amdhsa_user_sgpr_private_segment_size 0
		.amdhsa_uses_dynamic_stack 0
		.amdhsa_system_sgpr_private_segment_wavefront_offset 0
		.amdhsa_system_sgpr_workgroup_id_x 1
		.amdhsa_system_sgpr_workgroup_id_y 0
		.amdhsa_system_sgpr_workgroup_id_z 0
		.amdhsa_system_sgpr_workgroup_info 0
		.amdhsa_system_vgpr_workitem_id 0
		.amdhsa_next_free_vgpr 15
		.amdhsa_next_free_sgpr 17
		.amdhsa_reserve_vcc 1
		.amdhsa_reserve_flat_scratch 0
		.amdhsa_float_round_mode_32 0
		.amdhsa_float_round_mode_16_64 0
		.amdhsa_float_denorm_mode_32 3
		.amdhsa_float_denorm_mode_16_64 3
		.amdhsa_dx10_clamp 1
		.amdhsa_ieee_mode 1
		.amdhsa_fp16_overflow 0
		.amdhsa_exception_fp_ieee_invalid_op 0
		.amdhsa_exception_fp_denorm_src 0
		.amdhsa_exception_fp_ieee_div_zero 0
		.amdhsa_exception_fp_ieee_overflow 0
		.amdhsa_exception_fp_ieee_underflow 0
		.amdhsa_exception_fp_ieee_inexact 0
		.amdhsa_exception_int_div_zero 0
	.end_amdhsa_kernel
	.section	.text._ZN9rocsparseL28internal_extract_fill_kernelILj1024EiiiEEvT2_PKT1_PKS1_PKT0_21rocsparse_index_base_b20rocsparse_diag_type_S4_PS1_PS7_SA_,"axG",@progbits,_ZN9rocsparseL28internal_extract_fill_kernelILj1024EiiiEEvT2_PKT1_PKS1_PKT0_21rocsparse_index_base_b20rocsparse_diag_type_S4_PS1_PS7_SA_,comdat
.Lfunc_end40:
	.size	_ZN9rocsparseL28internal_extract_fill_kernelILj1024EiiiEEvT2_PKT1_PKS1_PKT0_21rocsparse_index_base_b20rocsparse_diag_type_S4_PS1_PS7_SA_, .Lfunc_end40-_ZN9rocsparseL28internal_extract_fill_kernelILj1024EiiiEEvT2_PKT1_PKS1_PKT0_21rocsparse_index_base_b20rocsparse_diag_type_S4_PS1_PS7_SA_
                                        ; -- End function
	.set _ZN9rocsparseL28internal_extract_fill_kernelILj1024EiiiEEvT2_PKT1_PKS1_PKT0_21rocsparse_index_base_b20rocsparse_diag_type_S4_PS1_PS7_SA_.num_vgpr, 15
	.set _ZN9rocsparseL28internal_extract_fill_kernelILj1024EiiiEEvT2_PKT1_PKS1_PKT0_21rocsparse_index_base_b20rocsparse_diag_type_S4_PS1_PS7_SA_.num_agpr, 0
	.set _ZN9rocsparseL28internal_extract_fill_kernelILj1024EiiiEEvT2_PKT1_PKS1_PKT0_21rocsparse_index_base_b20rocsparse_diag_type_S4_PS1_PS7_SA_.numbered_sgpr, 17
	.set _ZN9rocsparseL28internal_extract_fill_kernelILj1024EiiiEEvT2_PKT1_PKS1_PKT0_21rocsparse_index_base_b20rocsparse_diag_type_S4_PS1_PS7_SA_.num_named_barrier, 0
	.set _ZN9rocsparseL28internal_extract_fill_kernelILj1024EiiiEEvT2_PKT1_PKS1_PKT0_21rocsparse_index_base_b20rocsparse_diag_type_S4_PS1_PS7_SA_.private_seg_size, 0
	.set _ZN9rocsparseL28internal_extract_fill_kernelILj1024EiiiEEvT2_PKT1_PKS1_PKT0_21rocsparse_index_base_b20rocsparse_diag_type_S4_PS1_PS7_SA_.uses_vcc, 1
	.set _ZN9rocsparseL28internal_extract_fill_kernelILj1024EiiiEEvT2_PKT1_PKS1_PKT0_21rocsparse_index_base_b20rocsparse_diag_type_S4_PS1_PS7_SA_.uses_flat_scratch, 0
	.set _ZN9rocsparseL28internal_extract_fill_kernelILj1024EiiiEEvT2_PKT1_PKS1_PKT0_21rocsparse_index_base_b20rocsparse_diag_type_S4_PS1_PS7_SA_.has_dyn_sized_stack, 0
	.set _ZN9rocsparseL28internal_extract_fill_kernelILj1024EiiiEEvT2_PKT1_PKS1_PKT0_21rocsparse_index_base_b20rocsparse_diag_type_S4_PS1_PS7_SA_.has_recursion, 0
	.set _ZN9rocsparseL28internal_extract_fill_kernelILj1024EiiiEEvT2_PKT1_PKS1_PKT0_21rocsparse_index_base_b20rocsparse_diag_type_S4_PS1_PS7_SA_.has_indirect_call, 0
	.section	.AMDGPU.csdata,"",@progbits
; Kernel info:
; codeLenInByte = 512
; TotalNumSgprs: 21
; NumVgprs: 15
; ScratchSize: 0
; MemoryBound: 0
; FloatMode: 240
; IeeeMode: 1
; LDSByteSize: 0 bytes/workgroup (compile time only)
; SGPRBlocks: 2
; VGPRBlocks: 3
; NumSGPRsForWavesPerEU: 21
; NumVGPRsForWavesPerEU: 15
; Occupancy: 10
; WaveLimiterHint : 0
; COMPUTE_PGM_RSRC2:SCRATCH_EN: 0
; COMPUTE_PGM_RSRC2:USER_SGPR: 6
; COMPUTE_PGM_RSRC2:TRAP_HANDLER: 0
; COMPUTE_PGM_RSRC2:TGID_X_EN: 1
; COMPUTE_PGM_RSRC2:TGID_Y_EN: 0
; COMPUTE_PGM_RSRC2:TGID_Z_EN: 0
; COMPUTE_PGM_RSRC2:TIDIG_COMP_CNT: 0
	.section	.text._ZN9rocsparseL28internal_extract_fill_kernelILj1024EiilEEvT2_PKT1_PKS1_PKT0_21rocsparse_index_base_b20rocsparse_diag_type_S4_PS1_PS7_SA_,"axG",@progbits,_ZN9rocsparseL28internal_extract_fill_kernelILj1024EiilEEvT2_PKT1_PKS1_PKT0_21rocsparse_index_base_b20rocsparse_diag_type_S4_PS1_PS7_SA_,comdat
	.globl	_ZN9rocsparseL28internal_extract_fill_kernelILj1024EiilEEvT2_PKT1_PKS1_PKT0_21rocsparse_index_base_b20rocsparse_diag_type_S4_PS1_PS7_SA_ ; -- Begin function _ZN9rocsparseL28internal_extract_fill_kernelILj1024EiilEEvT2_PKT1_PKS1_PKT0_21rocsparse_index_base_b20rocsparse_diag_type_S4_PS1_PS7_SA_
	.p2align	8
	.type	_ZN9rocsparseL28internal_extract_fill_kernelILj1024EiilEEvT2_PKT1_PKS1_PKT0_21rocsparse_index_base_b20rocsparse_diag_type_S4_PS1_PS7_SA_,@function
_ZN9rocsparseL28internal_extract_fill_kernelILj1024EiilEEvT2_PKT1_PKS1_PKT0_21rocsparse_index_base_b20rocsparse_diag_type_S4_PS1_PS7_SA_: ; @_ZN9rocsparseL28internal_extract_fill_kernelILj1024EiilEEvT2_PKT1_PKS1_PKT0_21rocsparse_index_base_b20rocsparse_diag_type_S4_PS1_PS7_SA_
; %bb.0:
	s_load_dword s2, s[4:5], 0x5c
	s_load_dwordx2 s[0:1], s[4:5], 0x0
	s_waitcnt lgkmcnt(0)
	s_and_b32 s2, s2, 0xffff
	s_mul_i32 s6, s6, s2
	v_add_u32_e32 v0, s6, v0
	v_ashrrev_i32_e32 v1, 31, v0
	v_cmp_gt_i64_e32 vcc, s[0:1], v[0:1]
	s_and_saveexec_b64 s[0:1], vcc
	s_cbranch_execz .LBB41_17
; %bb.1:
	s_load_dwordx2 s[0:1], s[4:5], 0x8
	v_lshlrev_b64 v[4:5], 2, v[0:1]
	s_waitcnt lgkmcnt(0)
	v_mov_b32_e32 v3, s1
	v_add_co_u32_e32 v2, vcc, s0, v4
	v_addc_co_u32_e32 v3, vcc, v3, v5, vcc
	global_load_dwordx2 v[2:3], v[2:3], off
	s_waitcnt vmcnt(0)
	v_cmp_lt_i32_e32 vcc, v2, v3
	s_and_b64 exec, exec, vcc
	s_cbranch_execz .LBB41_17
; %bb.2:
	s_load_dwordx4 s[0:3], s[4:5], 0x30
	s_waitcnt lgkmcnt(0)
	v_mov_b32_e32 v6, s1
	v_add_co_u32_e32 v4, vcc, s0, v4
	v_addc_co_u32_e32 v5, vcc, v6, v5, vcc
	global_load_dword v8, v[4:5], off
	s_load_dwordx8 s[8:15], s[4:5], 0x10
	s_load_dwordx2 s[6:7], s[4:5], 0x40
	s_load_dword s18, s[4:5], 0x48
	s_waitcnt lgkmcnt(0)
	v_subrev_u32_e32 v2, s12, v2
	v_subrev_u32_e32 v11, s12, v3
	v_ashrrev_i32_e32 v3, 31, v2
	v_lshlrev_b64 v[4:5], 3, v[2:3]
	s_bitcmp1_b32 s13, 0
	v_mov_b32_e32 v9, s9
	s_cselect_b64 s[0:1], -1, 0
	v_lshlrev_b64 v[6:7], 2, v[2:3]
	v_add_co_u32_e32 v3, vcc, s8, v4
	s_xor_b64 s[4:5], s[0:1], -1
	v_addc_co_u32_e32 v4, vcc, v9, v5, vcc
	v_mov_b32_e32 v10, s11
	s_cmp_lg_u32 s14, 1
	v_add_co_u32_e32 v5, vcc, s10, v6
	s_cselect_b64 s[14:15], -1, 0
	v_addc_co_u32_e32 v6, vcc, v10, v7, vcc
	s_mov_b64 s[8:9], 0
	s_waitcnt vmcnt(0)
	v_subrev_u32_e32 v7, s18, v8
	s_branch .LBB41_4
.LBB41_3:                               ;   in Loop: Header=BB41_4 Depth=1
	s_or_b64 exec, exec, s[0:1]
	v_add_co_u32_e32 v3, vcc, 8, v3
	v_add_u32_e32 v2, 1, v2
	v_addc_co_u32_e32 v4, vcc, 0, v4, vcc
	v_cmp_ge_i32_e32 vcc, v2, v11
	s_or_b64 s[8:9], vcc, s[8:9]
	v_add_co_u32_e32 v5, vcc, 4, v5
	v_addc_co_u32_e32 v6, vcc, 0, v6, vcc
	s_andn2_b64 exec, exec, s[8:9]
	s_cbranch_execz .LBB41_17
.LBB41_4:                               ; =>This Inner Loop Header: Depth=1
	global_load_dwordx2 v[9:10], v[3:4], off
	s_and_b64 vcc, exec, s[4:5]
	s_mov_b64 s[16:17], -1
                                        ; implicit-def: $sgpr10_sgpr11
	s_waitcnt vmcnt(0)
	v_subrev_co_u32_e64 v9, s[0:1], s12, v9
	v_subbrev_co_u32_e64 v10, s[0:1], 0, v10, s[0:1]
	s_cbranch_vccz .LBB41_10
; %bb.5:                                ;   in Loop: Header=BB41_4 Depth=1
	s_mov_b64 s[0:1], -1
	s_and_b64 vcc, exec, s[14:15]
                                        ; implicit-def: $sgpr10_sgpr11
	s_cbranch_vccz .LBB41_7
; %bb.6:                                ;   in Loop: Header=BB41_4 Depth=1
	v_cmp_ge_i64_e64 s[10:11], v[9:10], v[0:1]
	s_mov_b64 s[0:1], 0
.LBB41_7:                               ;   in Loop: Header=BB41_4 Depth=1
	s_andn2_b64 vcc, exec, s[0:1]
	s_cbranch_vccnz .LBB41_9
; %bb.8:                                ;   in Loop: Header=BB41_4 Depth=1
	v_cmp_gt_i64_e32 vcc, v[9:10], v[0:1]
	s_andn2_b64 s[0:1], s[10:11], exec
	s_and_b64 s[10:11], vcc, exec
	s_or_b64 s[10:11], s[0:1], s[10:11]
.LBB41_9:                               ;   in Loop: Header=BB41_4 Depth=1
	s_mov_b64 s[16:17], 0
.LBB41_10:                              ;   in Loop: Header=BB41_4 Depth=1
	s_andn2_b64 vcc, exec, s[16:17]
	s_cbranch_vccnz .LBB41_15
; %bb.11:                               ;   in Loop: Header=BB41_4 Depth=1
	s_mov_b64 s[0:1], -1
	s_and_b64 vcc, exec, s[14:15]
                                        ; implicit-def: $sgpr10_sgpr11
	s_cbranch_vccz .LBB41_13
; %bb.12:                               ;   in Loop: Header=BB41_4 Depth=1
	v_cmp_le_i64_e64 s[10:11], v[9:10], v[0:1]
	s_mov_b64 s[0:1], 0
.LBB41_13:                              ;   in Loop: Header=BB41_4 Depth=1
	s_andn2_b64 vcc, exec, s[0:1]
	s_cbranch_vccnz .LBB41_15
; %bb.14:                               ;   in Loop: Header=BB41_4 Depth=1
	v_cmp_lt_i64_e32 vcc, v[9:10], v[0:1]
	s_andn2_b64 s[0:1], s[10:11], exec
	s_and_b64 s[10:11], vcc, exec
	s_or_b64 s[10:11], s[0:1], s[10:11]
.LBB41_15:                              ;   in Loop: Header=BB41_4 Depth=1
	s_and_saveexec_b64 s[0:1], s[10:11]
	s_cbranch_execz .LBB41_3
; %bb.16:                               ;   in Loop: Header=BB41_4 Depth=1
	global_load_dword v14, v[5:6], off
	v_ashrrev_i32_e32 v8, 31, v7
	v_add_co_u32_e32 v9, vcc, s18, v9
	v_lshlrev_b64 v[12:13], 2, v[7:8]
	v_addc_co_u32_e32 v10, vcc, 0, v10, vcc
	v_add_u32_e32 v15, 1, v7
	v_mov_b32_e32 v16, s7
	v_lshlrev_b64 v[7:8], 3, v[7:8]
	v_add_co_u32_e32 v12, vcc, s6, v12
	v_addc_co_u32_e32 v13, vcc, v16, v13, vcc
	v_mov_b32_e32 v17, s3
	v_add_co_u32_e32 v7, vcc, s2, v7
	v_addc_co_u32_e32 v8, vcc, v17, v8, vcc
	global_store_dwordx2 v[7:8], v[9:10], off
	s_waitcnt vmcnt(1)
	global_store_dword v[12:13], v14, off
	v_mov_b32_e32 v7, v15
	s_branch .LBB41_3
.LBB41_17:
	s_endpgm
	.section	.rodata,"a",@progbits
	.p2align	6, 0x0
	.amdhsa_kernel _ZN9rocsparseL28internal_extract_fill_kernelILj1024EiilEEvT2_PKT1_PKS1_PKT0_21rocsparse_index_base_b20rocsparse_diag_type_S4_PS1_PS7_SA_
		.amdhsa_group_segment_fixed_size 0
		.amdhsa_private_segment_fixed_size 0
		.amdhsa_kernarg_size 336
		.amdhsa_user_sgpr_count 6
		.amdhsa_user_sgpr_private_segment_buffer 1
		.amdhsa_user_sgpr_dispatch_ptr 0
		.amdhsa_user_sgpr_queue_ptr 0
		.amdhsa_user_sgpr_kernarg_segment_ptr 1
		.amdhsa_user_sgpr_dispatch_id 0
		.amdhsa_user_sgpr_flat_scratch_init 0
		.amdhsa_user_sgpr_private_segment_size 0
		.amdhsa_uses_dynamic_stack 0
		.amdhsa_system_sgpr_private_segment_wavefront_offset 0
		.amdhsa_system_sgpr_workgroup_id_x 1
		.amdhsa_system_sgpr_workgroup_id_y 0
		.amdhsa_system_sgpr_workgroup_id_z 0
		.amdhsa_system_sgpr_workgroup_info 0
		.amdhsa_system_vgpr_workitem_id 0
		.amdhsa_next_free_vgpr 18
		.amdhsa_next_free_sgpr 19
		.amdhsa_reserve_vcc 1
		.amdhsa_reserve_flat_scratch 0
		.amdhsa_float_round_mode_32 0
		.amdhsa_float_round_mode_16_64 0
		.amdhsa_float_denorm_mode_32 3
		.amdhsa_float_denorm_mode_16_64 3
		.amdhsa_dx10_clamp 1
		.amdhsa_ieee_mode 1
		.amdhsa_fp16_overflow 0
		.amdhsa_exception_fp_ieee_invalid_op 0
		.amdhsa_exception_fp_denorm_src 0
		.amdhsa_exception_fp_ieee_div_zero 0
		.amdhsa_exception_fp_ieee_overflow 0
		.amdhsa_exception_fp_ieee_underflow 0
		.amdhsa_exception_fp_ieee_inexact 0
		.amdhsa_exception_int_div_zero 0
	.end_amdhsa_kernel
	.section	.text._ZN9rocsparseL28internal_extract_fill_kernelILj1024EiilEEvT2_PKT1_PKS1_PKT0_21rocsparse_index_base_b20rocsparse_diag_type_S4_PS1_PS7_SA_,"axG",@progbits,_ZN9rocsparseL28internal_extract_fill_kernelILj1024EiilEEvT2_PKT1_PKS1_PKT0_21rocsparse_index_base_b20rocsparse_diag_type_S4_PS1_PS7_SA_,comdat
.Lfunc_end41:
	.size	_ZN9rocsparseL28internal_extract_fill_kernelILj1024EiilEEvT2_PKT1_PKS1_PKT0_21rocsparse_index_base_b20rocsparse_diag_type_S4_PS1_PS7_SA_, .Lfunc_end41-_ZN9rocsparseL28internal_extract_fill_kernelILj1024EiilEEvT2_PKT1_PKS1_PKT0_21rocsparse_index_base_b20rocsparse_diag_type_S4_PS1_PS7_SA_
                                        ; -- End function
	.set _ZN9rocsparseL28internal_extract_fill_kernelILj1024EiilEEvT2_PKT1_PKS1_PKT0_21rocsparse_index_base_b20rocsparse_diag_type_S4_PS1_PS7_SA_.num_vgpr, 18
	.set _ZN9rocsparseL28internal_extract_fill_kernelILj1024EiilEEvT2_PKT1_PKS1_PKT0_21rocsparse_index_base_b20rocsparse_diag_type_S4_PS1_PS7_SA_.num_agpr, 0
	.set _ZN9rocsparseL28internal_extract_fill_kernelILj1024EiilEEvT2_PKT1_PKS1_PKT0_21rocsparse_index_base_b20rocsparse_diag_type_S4_PS1_PS7_SA_.numbered_sgpr, 19
	.set _ZN9rocsparseL28internal_extract_fill_kernelILj1024EiilEEvT2_PKT1_PKS1_PKT0_21rocsparse_index_base_b20rocsparse_diag_type_S4_PS1_PS7_SA_.num_named_barrier, 0
	.set _ZN9rocsparseL28internal_extract_fill_kernelILj1024EiilEEvT2_PKT1_PKS1_PKT0_21rocsparse_index_base_b20rocsparse_diag_type_S4_PS1_PS7_SA_.private_seg_size, 0
	.set _ZN9rocsparseL28internal_extract_fill_kernelILj1024EiilEEvT2_PKT1_PKS1_PKT0_21rocsparse_index_base_b20rocsparse_diag_type_S4_PS1_PS7_SA_.uses_vcc, 1
	.set _ZN9rocsparseL28internal_extract_fill_kernelILj1024EiilEEvT2_PKT1_PKS1_PKT0_21rocsparse_index_base_b20rocsparse_diag_type_S4_PS1_PS7_SA_.uses_flat_scratch, 0
	.set _ZN9rocsparseL28internal_extract_fill_kernelILj1024EiilEEvT2_PKT1_PKS1_PKT0_21rocsparse_index_base_b20rocsparse_diag_type_S4_PS1_PS7_SA_.has_dyn_sized_stack, 0
	.set _ZN9rocsparseL28internal_extract_fill_kernelILj1024EiilEEvT2_PKT1_PKS1_PKT0_21rocsparse_index_base_b20rocsparse_diag_type_S4_PS1_PS7_SA_.has_recursion, 0
	.set _ZN9rocsparseL28internal_extract_fill_kernelILj1024EiilEEvT2_PKT1_PKS1_PKT0_21rocsparse_index_base_b20rocsparse_diag_type_S4_PS1_PS7_SA_.has_indirect_call, 0
	.section	.AMDGPU.csdata,"",@progbits
; Kernel info:
; codeLenInByte = 548
; TotalNumSgprs: 23
; NumVgprs: 18
; ScratchSize: 0
; MemoryBound: 0
; FloatMode: 240
; IeeeMode: 1
; LDSByteSize: 0 bytes/workgroup (compile time only)
; SGPRBlocks: 2
; VGPRBlocks: 4
; NumSGPRsForWavesPerEU: 23
; NumVGPRsForWavesPerEU: 18
; Occupancy: 10
; WaveLimiterHint : 0
; COMPUTE_PGM_RSRC2:SCRATCH_EN: 0
; COMPUTE_PGM_RSRC2:USER_SGPR: 6
; COMPUTE_PGM_RSRC2:TRAP_HANDLER: 0
; COMPUTE_PGM_RSRC2:TGID_X_EN: 1
; COMPUTE_PGM_RSRC2:TGID_Y_EN: 0
; COMPUTE_PGM_RSRC2:TGID_Z_EN: 0
; COMPUTE_PGM_RSRC2:TIDIG_COMP_CNT: 0
	.section	.text._ZN9rocsparseL28internal_extract_fill_kernelILj1024EiliEEvT2_PKT1_PKS1_PKT0_21rocsparse_index_base_b20rocsparse_diag_type_S4_PS1_PS7_SA_,"axG",@progbits,_ZN9rocsparseL28internal_extract_fill_kernelILj1024EiliEEvT2_PKT1_PKS1_PKT0_21rocsparse_index_base_b20rocsparse_diag_type_S4_PS1_PS7_SA_,comdat
	.globl	_ZN9rocsparseL28internal_extract_fill_kernelILj1024EiliEEvT2_PKT1_PKS1_PKT0_21rocsparse_index_base_b20rocsparse_diag_type_S4_PS1_PS7_SA_ ; -- Begin function _ZN9rocsparseL28internal_extract_fill_kernelILj1024EiliEEvT2_PKT1_PKS1_PKT0_21rocsparse_index_base_b20rocsparse_diag_type_S4_PS1_PS7_SA_
	.p2align	8
	.type	_ZN9rocsparseL28internal_extract_fill_kernelILj1024EiliEEvT2_PKT1_PKS1_PKT0_21rocsparse_index_base_b20rocsparse_diag_type_S4_PS1_PS7_SA_,@function
_ZN9rocsparseL28internal_extract_fill_kernelILj1024EiliEEvT2_PKT1_PKS1_PKT0_21rocsparse_index_base_b20rocsparse_diag_type_S4_PS1_PS7_SA_: ; @_ZN9rocsparseL28internal_extract_fill_kernelILj1024EiliEEvT2_PKT1_PKS1_PKT0_21rocsparse_index_base_b20rocsparse_diag_type_S4_PS1_PS7_SA_
; %bb.0:
	s_load_dword s0, s[4:5], 0x0
	s_load_dword s2, s[4:5], 0x5c
	v_mov_b32_e32 v5, 0
	s_waitcnt lgkmcnt(0)
	s_ashr_i32 s1, s0, 31
	s_and_b32 s2, s2, 0xffff
	s_mul_i32 s6, s6, s2
	v_add_u32_e32 v4, s6, v0
	v_cmp_gt_i64_e32 vcc, s[0:1], v[4:5]
	s_and_saveexec_b64 s[0:1], vcc
	s_cbranch_execz .LBB42_17
; %bb.1:
	s_load_dwordx2 s[0:1], s[4:5], 0x8
	v_lshlrev_b64 v[5:6], 3, v[4:5]
	s_waitcnt lgkmcnt(0)
	v_mov_b32_e32 v1, s1
	v_add_co_u32_e32 v0, vcc, s0, v5
	v_addc_co_u32_e32 v1, vcc, v1, v6, vcc
	global_load_dwordx4 v[0:3], v[0:1], off
	s_waitcnt vmcnt(0)
	v_cmp_lt_i64_e32 vcc, v[0:1], v[2:3]
	s_and_b64 exec, exec, vcc
	s_cbranch_execz .LBB42_17
; %bb.2:
	s_load_dwordx4 s[0:3], s[4:5], 0x30
	s_waitcnt lgkmcnt(0)
	v_mov_b32_e32 v7, s1
	v_add_co_u32_e32 v5, vcc, s0, v5
	v_addc_co_u32_e32 v6, vcc, v7, v6, vcc
	global_load_dwordx2 v[9:10], v[5:6], off
	s_load_dwordx8 s[8:15], s[4:5], 0x10
	s_load_dwordx2 s[6:7], s[4:5], 0x40
	s_load_dword s16, s[4:5], 0x48
	s_mov_b32 s1, 0
	v_lshlrev_b64 v[5:6], 2, v[0:1]
	s_waitcnt lgkmcnt(0)
	s_bitcmp1_b32 s13, 0
	v_subrev_co_u32_e32 v2, vcc, s12, v2
	s_cselect_b64 s[4:5], -1, 0
	v_subbrev_co_u32_e32 v3, vcc, 0, v3, vcc
	s_xor_b64 s[4:5], s[4:5], -1
	s_mov_b32 s0, s12
	v_subrev_co_u32_e32 v0, vcc, s12, v0
	s_cmp_lg_u32 s14, 1
	v_subbrev_co_u32_e32 v1, vcc, 0, v1, vcc
	s_cselect_b64 s[14:15], -1, 0
	s_lshl_b64 s[0:1], s[0:1], 2
	v_mov_b32_e32 v11, s1
	v_subrev_co_u32_e32 v12, vcc, s0, v5
	v_subb_co_u32_e32 v11, vcc, v6, v11, vcc
	v_mov_b32_e32 v7, s11
	v_add_co_u32_e32 v5, vcc, s10, v12
	v_addc_co_u32_e32 v6, vcc, v7, v11, vcc
	v_mov_b32_e32 v8, s9
	v_add_co_u32_e32 v7, vcc, s8, v12
	v_addc_co_u32_e32 v8, vcc, v8, v11, vcc
	s_mov_b64 s[8:9], 0
	s_waitcnt vmcnt(0)
	v_subrev_co_u32_e32 v9, vcc, s16, v9
	v_subbrev_co_u32_e32 v10, vcc, 0, v10, vcc
	s_branch .LBB42_4
.LBB42_3:                               ;   in Loop: Header=BB42_4 Depth=1
	s_or_b64 exec, exec, s[10:11]
	v_add_co_u32_e32 v0, vcc, 1, v0
	v_addc_co_u32_e32 v1, vcc, 0, v1, vcc
	v_cmp_ge_i64_e32 vcc, v[0:1], v[2:3]
	v_add_co_u32_e64 v5, s[0:1], 4, v5
	s_or_b64 s[8:9], vcc, s[8:9]
	v_add_co_u32_e32 v7, vcc, 4, v7
	v_addc_co_u32_e64 v6, s[0:1], 0, v6, s[0:1]
	v_addc_co_u32_e32 v8, vcc, 0, v8, vcc
	s_andn2_b64 exec, exec, s[8:9]
	s_cbranch_execz .LBB42_17
.LBB42_4:                               ; =>This Inner Loop Header: Depth=1
	global_load_dword v11, v[7:8], off
	s_and_b64 vcc, exec, s[4:5]
	s_mov_b64 s[10:11], -1
                                        ; implicit-def: $sgpr0_sgpr1
	s_waitcnt vmcnt(0)
	v_subrev_u32_e32 v11, s12, v11
	s_cbranch_vccz .LBB42_10
; %bb.5:                                ;   in Loop: Header=BB42_4 Depth=1
	s_and_b64 vcc, exec, s[14:15]
                                        ; implicit-def: $sgpr0_sgpr1
	s_cbranch_vccz .LBB42_7
; %bb.6:                                ;   in Loop: Header=BB42_4 Depth=1
	v_cmp_le_i32_e64 s[0:1], v4, v11
	s_mov_b64 s[10:11], 0
.LBB42_7:                               ;   in Loop: Header=BB42_4 Depth=1
	s_andn2_b64 vcc, exec, s[10:11]
	s_cbranch_vccnz .LBB42_9
; %bb.8:                                ;   in Loop: Header=BB42_4 Depth=1
	v_cmp_lt_i32_e32 vcc, v4, v11
	s_andn2_b64 s[0:1], s[0:1], exec
	s_and_b64 s[10:11], vcc, exec
	s_or_b64 s[0:1], s[0:1], s[10:11]
.LBB42_9:                               ;   in Loop: Header=BB42_4 Depth=1
	s_mov_b64 s[10:11], 0
.LBB42_10:                              ;   in Loop: Header=BB42_4 Depth=1
	s_andn2_b64 vcc, exec, s[10:11]
	s_cbranch_vccnz .LBB42_15
; %bb.11:                               ;   in Loop: Header=BB42_4 Depth=1
	s_mov_b64 s[10:11], -1
	s_and_b64 vcc, exec, s[14:15]
                                        ; implicit-def: $sgpr0_sgpr1
	s_cbranch_vccz .LBB42_13
; %bb.12:                               ;   in Loop: Header=BB42_4 Depth=1
	v_cmp_ge_i32_e64 s[0:1], v4, v11
	s_mov_b64 s[10:11], 0
.LBB42_13:                              ;   in Loop: Header=BB42_4 Depth=1
	s_andn2_b64 vcc, exec, s[10:11]
	s_cbranch_vccnz .LBB42_15
; %bb.14:                               ;   in Loop: Header=BB42_4 Depth=1
	v_cmp_gt_i32_e32 vcc, v4, v11
	s_andn2_b64 s[0:1], s[0:1], exec
	s_and_b64 s[10:11], vcc, exec
	s_or_b64 s[0:1], s[0:1], s[10:11]
.LBB42_15:                              ;   in Loop: Header=BB42_4 Depth=1
	s_and_saveexec_b64 s[10:11], s[0:1]
	s_cbranch_execz .LBB42_3
; %bb.16:                               ;   in Loop: Header=BB42_4 Depth=1
	global_load_dword v16, v[5:6], off
	v_add_co_u32_e32 v12, vcc, 1, v9
	v_addc_co_u32_e32 v13, vcc, 0, v10, vcc
	v_lshlrev_b64 v[9:10], 2, v[9:10]
	v_mov_b32_e32 v15, s7
	v_add_co_u32_e32 v14, vcc, s6, v9
	v_addc_co_u32_e32 v15, vcc, v15, v10, vcc
	v_mov_b32_e32 v17, s3
	v_add_co_u32_e32 v9, vcc, s2, v9
	v_add_u32_e32 v11, s16, v11
	v_addc_co_u32_e32 v10, vcc, v17, v10, vcc
	global_store_dword v[9:10], v11, off
	s_waitcnt vmcnt(1)
	global_store_dword v[14:15], v16, off
	v_mov_b32_e32 v9, v12
	v_mov_b32_e32 v10, v13
	s_branch .LBB42_3
.LBB42_17:
	s_endpgm
	.section	.rodata,"a",@progbits
	.p2align	6, 0x0
	.amdhsa_kernel _ZN9rocsparseL28internal_extract_fill_kernelILj1024EiliEEvT2_PKT1_PKS1_PKT0_21rocsparse_index_base_b20rocsparse_diag_type_S4_PS1_PS7_SA_
		.amdhsa_group_segment_fixed_size 0
		.amdhsa_private_segment_fixed_size 0
		.amdhsa_kernarg_size 336
		.amdhsa_user_sgpr_count 6
		.amdhsa_user_sgpr_private_segment_buffer 1
		.amdhsa_user_sgpr_dispatch_ptr 0
		.amdhsa_user_sgpr_queue_ptr 0
		.amdhsa_user_sgpr_kernarg_segment_ptr 1
		.amdhsa_user_sgpr_dispatch_id 0
		.amdhsa_user_sgpr_flat_scratch_init 0
		.amdhsa_user_sgpr_private_segment_size 0
		.amdhsa_uses_dynamic_stack 0
		.amdhsa_system_sgpr_private_segment_wavefront_offset 0
		.amdhsa_system_sgpr_workgroup_id_x 1
		.amdhsa_system_sgpr_workgroup_id_y 0
		.amdhsa_system_sgpr_workgroup_id_z 0
		.amdhsa_system_sgpr_workgroup_info 0
		.amdhsa_system_vgpr_workitem_id 0
		.amdhsa_next_free_vgpr 18
		.amdhsa_next_free_sgpr 17
		.amdhsa_reserve_vcc 1
		.amdhsa_reserve_flat_scratch 0
		.amdhsa_float_round_mode_32 0
		.amdhsa_float_round_mode_16_64 0
		.amdhsa_float_denorm_mode_32 3
		.amdhsa_float_denorm_mode_16_64 3
		.amdhsa_dx10_clamp 1
		.amdhsa_ieee_mode 1
		.amdhsa_fp16_overflow 0
		.amdhsa_exception_fp_ieee_invalid_op 0
		.amdhsa_exception_fp_denorm_src 0
		.amdhsa_exception_fp_ieee_div_zero 0
		.amdhsa_exception_fp_ieee_overflow 0
		.amdhsa_exception_fp_ieee_underflow 0
		.amdhsa_exception_fp_ieee_inexact 0
		.amdhsa_exception_int_div_zero 0
	.end_amdhsa_kernel
	.section	.text._ZN9rocsparseL28internal_extract_fill_kernelILj1024EiliEEvT2_PKT1_PKS1_PKT0_21rocsparse_index_base_b20rocsparse_diag_type_S4_PS1_PS7_SA_,"axG",@progbits,_ZN9rocsparseL28internal_extract_fill_kernelILj1024EiliEEvT2_PKT1_PKS1_PKT0_21rocsparse_index_base_b20rocsparse_diag_type_S4_PS1_PS7_SA_,comdat
.Lfunc_end42:
	.size	_ZN9rocsparseL28internal_extract_fill_kernelILj1024EiliEEvT2_PKT1_PKS1_PKT0_21rocsparse_index_base_b20rocsparse_diag_type_S4_PS1_PS7_SA_, .Lfunc_end42-_ZN9rocsparseL28internal_extract_fill_kernelILj1024EiliEEvT2_PKT1_PKS1_PKT0_21rocsparse_index_base_b20rocsparse_diag_type_S4_PS1_PS7_SA_
                                        ; -- End function
	.set _ZN9rocsparseL28internal_extract_fill_kernelILj1024EiliEEvT2_PKT1_PKS1_PKT0_21rocsparse_index_base_b20rocsparse_diag_type_S4_PS1_PS7_SA_.num_vgpr, 18
	.set _ZN9rocsparseL28internal_extract_fill_kernelILj1024EiliEEvT2_PKT1_PKS1_PKT0_21rocsparse_index_base_b20rocsparse_diag_type_S4_PS1_PS7_SA_.num_agpr, 0
	.set _ZN9rocsparseL28internal_extract_fill_kernelILj1024EiliEEvT2_PKT1_PKS1_PKT0_21rocsparse_index_base_b20rocsparse_diag_type_S4_PS1_PS7_SA_.numbered_sgpr, 17
	.set _ZN9rocsparseL28internal_extract_fill_kernelILj1024EiliEEvT2_PKT1_PKS1_PKT0_21rocsparse_index_base_b20rocsparse_diag_type_S4_PS1_PS7_SA_.num_named_barrier, 0
	.set _ZN9rocsparseL28internal_extract_fill_kernelILj1024EiliEEvT2_PKT1_PKS1_PKT0_21rocsparse_index_base_b20rocsparse_diag_type_S4_PS1_PS7_SA_.private_seg_size, 0
	.set _ZN9rocsparseL28internal_extract_fill_kernelILj1024EiliEEvT2_PKT1_PKS1_PKT0_21rocsparse_index_base_b20rocsparse_diag_type_S4_PS1_PS7_SA_.uses_vcc, 1
	.set _ZN9rocsparseL28internal_extract_fill_kernelILj1024EiliEEvT2_PKT1_PKS1_PKT0_21rocsparse_index_base_b20rocsparse_diag_type_S4_PS1_PS7_SA_.uses_flat_scratch, 0
	.set _ZN9rocsparseL28internal_extract_fill_kernelILj1024EiliEEvT2_PKT1_PKS1_PKT0_21rocsparse_index_base_b20rocsparse_diag_type_S4_PS1_PS7_SA_.has_dyn_sized_stack, 0
	.set _ZN9rocsparseL28internal_extract_fill_kernelILj1024EiliEEvT2_PKT1_PKS1_PKT0_21rocsparse_index_base_b20rocsparse_diag_type_S4_PS1_PS7_SA_.has_recursion, 0
	.set _ZN9rocsparseL28internal_extract_fill_kernelILj1024EiliEEvT2_PKT1_PKS1_PKT0_21rocsparse_index_base_b20rocsparse_diag_type_S4_PS1_PS7_SA_.has_indirect_call, 0
	.section	.AMDGPU.csdata,"",@progbits
; Kernel info:
; codeLenInByte = 564
; TotalNumSgprs: 21
; NumVgprs: 18
; ScratchSize: 0
; MemoryBound: 0
; FloatMode: 240
; IeeeMode: 1
; LDSByteSize: 0 bytes/workgroup (compile time only)
; SGPRBlocks: 2
; VGPRBlocks: 4
; NumSGPRsForWavesPerEU: 21
; NumVGPRsForWavesPerEU: 18
; Occupancy: 10
; WaveLimiterHint : 0
; COMPUTE_PGM_RSRC2:SCRATCH_EN: 0
; COMPUTE_PGM_RSRC2:USER_SGPR: 6
; COMPUTE_PGM_RSRC2:TRAP_HANDLER: 0
; COMPUTE_PGM_RSRC2:TGID_X_EN: 1
; COMPUTE_PGM_RSRC2:TGID_Y_EN: 0
; COMPUTE_PGM_RSRC2:TGID_Z_EN: 0
; COMPUTE_PGM_RSRC2:TIDIG_COMP_CNT: 0
	.section	.text._ZN9rocsparseL28internal_extract_fill_kernelILj1024EillEEvT2_PKT1_PKS1_PKT0_21rocsparse_index_base_b20rocsparse_diag_type_S4_PS1_PS7_SA_,"axG",@progbits,_ZN9rocsparseL28internal_extract_fill_kernelILj1024EillEEvT2_PKT1_PKS1_PKT0_21rocsparse_index_base_b20rocsparse_diag_type_S4_PS1_PS7_SA_,comdat
	.globl	_ZN9rocsparseL28internal_extract_fill_kernelILj1024EillEEvT2_PKT1_PKS1_PKT0_21rocsparse_index_base_b20rocsparse_diag_type_S4_PS1_PS7_SA_ ; -- Begin function _ZN9rocsparseL28internal_extract_fill_kernelILj1024EillEEvT2_PKT1_PKS1_PKT0_21rocsparse_index_base_b20rocsparse_diag_type_S4_PS1_PS7_SA_
	.p2align	8
	.type	_ZN9rocsparseL28internal_extract_fill_kernelILj1024EillEEvT2_PKT1_PKS1_PKT0_21rocsparse_index_base_b20rocsparse_diag_type_S4_PS1_PS7_SA_,@function
_ZN9rocsparseL28internal_extract_fill_kernelILj1024EillEEvT2_PKT1_PKS1_PKT0_21rocsparse_index_base_b20rocsparse_diag_type_S4_PS1_PS7_SA_: ; @_ZN9rocsparseL28internal_extract_fill_kernelILj1024EillEEvT2_PKT1_PKS1_PKT0_21rocsparse_index_base_b20rocsparse_diag_type_S4_PS1_PS7_SA_
; %bb.0:
	s_load_dword s2, s[4:5], 0x5c
	s_load_dwordx2 s[0:1], s[4:5], 0x0
	v_mov_b32_e32 v5, 0
	s_waitcnt lgkmcnt(0)
	s_and_b32 s2, s2, 0xffff
	s_mul_i32 s6, s6, s2
	v_add_u32_e32 v4, s6, v0
	v_cmp_gt_i64_e32 vcc, s[0:1], v[4:5]
	s_and_saveexec_b64 s[0:1], vcc
	s_cbranch_execz .LBB43_17
; %bb.1:
	s_load_dwordx2 s[0:1], s[4:5], 0x8
	v_lshlrev_b64 v[6:7], 3, v[4:5]
	s_waitcnt lgkmcnt(0)
	v_mov_b32_e32 v1, s1
	v_add_co_u32_e32 v0, vcc, s0, v6
	v_addc_co_u32_e32 v1, vcc, v1, v7, vcc
	global_load_dwordx4 v[0:3], v[0:1], off
	s_waitcnt vmcnt(0)
	v_cmp_lt_i64_e32 vcc, v[0:1], v[2:3]
	s_and_b64 exec, exec, vcc
	s_cbranch_execz .LBB43_17
; %bb.2:
	s_load_dwordx4 s[0:3], s[4:5], 0x30
	s_waitcnt lgkmcnt(0)
	v_mov_b32_e32 v8, s1
	v_add_co_u32_e32 v6, vcc, s0, v6
	v_addc_co_u32_e32 v7, vcc, v8, v7, vcc
	global_load_dwordx2 v[10:11], v[6:7], off
	s_load_dwordx2 s[6:7], s[4:5], 0x40
	s_load_dwordx8 s[8:15], s[4:5], 0x10
	s_load_dword s18, s[4:5], 0x48
	v_lshlrev_b64 v[6:7], 2, v[0:1]
	v_lshlrev_b64 v[8:9], 3, v[0:1]
	s_mov_b32 s5, 0
	s_waitcnt lgkmcnt(0)
	v_subrev_co_u32_e32 v2, vcc, s12, v2
	s_bitcmp1_b32 s13, 0
	v_subbrev_co_u32_e32 v3, vcc, 0, v3, vcc
	s_cselect_b64 s[0:1], -1, 0
	s_mov_b32 s4, s12
	v_subrev_co_u32_e32 v0, vcc, s12, v0
	s_xor_b64 s[12:13], s[0:1], -1
	s_cmp_lg_u32 s14, 1
	v_subbrev_co_u32_e32 v1, vcc, 0, v1, vcc
	s_cselect_b64 s[14:15], -1, 0
	s_lshl_b64 s[0:1], s[4:5], 2
	v_mov_b32_e32 v14, s1
	v_subrev_co_u32_e32 v6, vcc, s0, v6
	s_lshl_b64 s[16:17], s[4:5], 3
	v_subb_co_u32_e32 v7, vcc, v7, v14, vcc
	v_mov_b32_e32 v15, s17
	v_subrev_co_u32_e32 v8, vcc, s16, v8
	v_subb_co_u32_e32 v9, vcc, v9, v15, vcc
	v_mov_b32_e32 v12, s11
	v_add_co_u32_e32 v6, vcc, s10, v6
	v_addc_co_u32_e32 v7, vcc, v12, v7, vcc
	v_mov_b32_e32 v13, s9
	v_add_co_u32_e32 v8, vcc, s8, v8
	v_addc_co_u32_e32 v9, vcc, v13, v9, vcc
	s_mov_b64 s[8:9], 0
	s_waitcnt vmcnt(0)
	v_subrev_co_u32_e32 v10, vcc, s18, v10
	v_subbrev_co_u32_e32 v11, vcc, 0, v11, vcc
	s_branch .LBB43_4
.LBB43_3:                               ;   in Loop: Header=BB43_4 Depth=1
	s_or_b64 exec, exec, s[0:1]
	v_add_co_u32_e32 v0, vcc, 1, v0
	v_addc_co_u32_e32 v1, vcc, 0, v1, vcc
	v_cmp_ge_i64_e32 vcc, v[0:1], v[2:3]
	v_add_co_u32_e64 v6, s[0:1], 4, v6
	s_or_b64 s[8:9], vcc, s[8:9]
	v_add_co_u32_e32 v8, vcc, 8, v8
	v_addc_co_u32_e64 v7, s[0:1], 0, v7, s[0:1]
	v_addc_co_u32_e32 v9, vcc, 0, v9, vcc
	s_andn2_b64 exec, exec, s[8:9]
	s_cbranch_execz .LBB43_17
.LBB43_4:                               ; =>This Inner Loop Header: Depth=1
	global_load_dwordx2 v[12:13], v[8:9], off
	s_and_b64 vcc, exec, s[12:13]
	s_mov_b64 s[16:17], -1
                                        ; implicit-def: $sgpr10_sgpr11
	s_waitcnt vmcnt(0)
	v_subrev_co_u32_e64 v12, s[0:1], s4, v12
	v_subbrev_co_u32_e64 v13, s[0:1], 0, v13, s[0:1]
	s_cbranch_vccz .LBB43_10
; %bb.5:                                ;   in Loop: Header=BB43_4 Depth=1
	s_mov_b64 s[0:1], -1
	s_and_b64 vcc, exec, s[14:15]
                                        ; implicit-def: $sgpr10_sgpr11
	s_cbranch_vccz .LBB43_7
; %bb.6:                                ;   in Loop: Header=BB43_4 Depth=1
	v_cmp_ge_i64_e64 s[10:11], v[12:13], v[4:5]
	s_mov_b64 s[0:1], 0
.LBB43_7:                               ;   in Loop: Header=BB43_4 Depth=1
	s_andn2_b64 vcc, exec, s[0:1]
	s_cbranch_vccnz .LBB43_9
; %bb.8:                                ;   in Loop: Header=BB43_4 Depth=1
	v_cmp_gt_i64_e32 vcc, v[12:13], v[4:5]
	s_andn2_b64 s[0:1], s[10:11], exec
	s_and_b64 s[10:11], vcc, exec
	s_or_b64 s[10:11], s[0:1], s[10:11]
.LBB43_9:                               ;   in Loop: Header=BB43_4 Depth=1
	s_mov_b64 s[16:17], 0
.LBB43_10:                              ;   in Loop: Header=BB43_4 Depth=1
	s_andn2_b64 vcc, exec, s[16:17]
	s_cbranch_vccnz .LBB43_15
; %bb.11:                               ;   in Loop: Header=BB43_4 Depth=1
	s_mov_b64 s[0:1], -1
	s_and_b64 vcc, exec, s[14:15]
                                        ; implicit-def: $sgpr10_sgpr11
	s_cbranch_vccz .LBB43_13
; %bb.12:                               ;   in Loop: Header=BB43_4 Depth=1
	v_cmp_le_i64_e64 s[10:11], v[12:13], v[4:5]
	s_mov_b64 s[0:1], 0
.LBB43_13:                              ;   in Loop: Header=BB43_4 Depth=1
	s_andn2_b64 vcc, exec, s[0:1]
	s_cbranch_vccnz .LBB43_15
; %bb.14:                               ;   in Loop: Header=BB43_4 Depth=1
	v_cmp_lt_i64_e32 vcc, v[12:13], v[4:5]
	s_andn2_b64 s[0:1], s[10:11], exec
	s_and_b64 s[10:11], vcc, exec
	s_or_b64 s[10:11], s[0:1], s[10:11]
.LBB43_15:                              ;   in Loop: Header=BB43_4 Depth=1
	s_and_saveexec_b64 s[0:1], s[10:11]
	s_cbranch_execz .LBB43_3
; %bb.16:                               ;   in Loop: Header=BB43_4 Depth=1
	global_load_dword v18, v[6:7], off
	v_add_co_u32_e32 v14, vcc, 1, v10
	v_addc_co_u32_e32 v15, vcc, 0, v11, vcc
	v_lshlrev_b64 v[16:17], 2, v[10:11]
	v_add_co_u32_e32 v12, vcc, s18, v12
	v_addc_co_u32_e32 v13, vcc, 0, v13, vcc
	v_mov_b32_e32 v19, s7
	v_lshlrev_b64 v[10:11], 3, v[10:11]
	v_add_co_u32_e32 v16, vcc, s6, v16
	v_addc_co_u32_e32 v17, vcc, v19, v17, vcc
	v_mov_b32_e32 v20, s3
	v_add_co_u32_e32 v10, vcc, s2, v10
	v_addc_co_u32_e32 v11, vcc, v20, v11, vcc
	global_store_dwordx2 v[10:11], v[12:13], off
	s_waitcnt vmcnt(1)
	global_store_dword v[16:17], v18, off
	v_mov_b32_e32 v10, v14
	v_mov_b32_e32 v11, v15
	s_branch .LBB43_3
.LBB43_17:
	s_endpgm
	.section	.rodata,"a",@progbits
	.p2align	6, 0x0
	.amdhsa_kernel _ZN9rocsparseL28internal_extract_fill_kernelILj1024EillEEvT2_PKT1_PKS1_PKT0_21rocsparse_index_base_b20rocsparse_diag_type_S4_PS1_PS7_SA_
		.amdhsa_group_segment_fixed_size 0
		.amdhsa_private_segment_fixed_size 0
		.amdhsa_kernarg_size 336
		.amdhsa_user_sgpr_count 6
		.amdhsa_user_sgpr_private_segment_buffer 1
		.amdhsa_user_sgpr_dispatch_ptr 0
		.amdhsa_user_sgpr_queue_ptr 0
		.amdhsa_user_sgpr_kernarg_segment_ptr 1
		.amdhsa_user_sgpr_dispatch_id 0
		.amdhsa_user_sgpr_flat_scratch_init 0
		.amdhsa_user_sgpr_private_segment_size 0
		.amdhsa_uses_dynamic_stack 0
		.amdhsa_system_sgpr_private_segment_wavefront_offset 0
		.amdhsa_system_sgpr_workgroup_id_x 1
		.amdhsa_system_sgpr_workgroup_id_y 0
		.amdhsa_system_sgpr_workgroup_id_z 0
		.amdhsa_system_sgpr_workgroup_info 0
		.amdhsa_system_vgpr_workitem_id 0
		.amdhsa_next_free_vgpr 21
		.amdhsa_next_free_sgpr 19
		.amdhsa_reserve_vcc 1
		.amdhsa_reserve_flat_scratch 0
		.amdhsa_float_round_mode_32 0
		.amdhsa_float_round_mode_16_64 0
		.amdhsa_float_denorm_mode_32 3
		.amdhsa_float_denorm_mode_16_64 3
		.amdhsa_dx10_clamp 1
		.amdhsa_ieee_mode 1
		.amdhsa_fp16_overflow 0
		.amdhsa_exception_fp_ieee_invalid_op 0
		.amdhsa_exception_fp_denorm_src 0
		.amdhsa_exception_fp_ieee_div_zero 0
		.amdhsa_exception_fp_ieee_overflow 0
		.amdhsa_exception_fp_ieee_underflow 0
		.amdhsa_exception_fp_ieee_inexact 0
		.amdhsa_exception_int_div_zero 0
	.end_amdhsa_kernel
	.section	.text._ZN9rocsparseL28internal_extract_fill_kernelILj1024EillEEvT2_PKT1_PKS1_PKT0_21rocsparse_index_base_b20rocsparse_diag_type_S4_PS1_PS7_SA_,"axG",@progbits,_ZN9rocsparseL28internal_extract_fill_kernelILj1024EillEEvT2_PKT1_PKS1_PKT0_21rocsparse_index_base_b20rocsparse_diag_type_S4_PS1_PS7_SA_,comdat
.Lfunc_end43:
	.size	_ZN9rocsparseL28internal_extract_fill_kernelILj1024EillEEvT2_PKT1_PKS1_PKT0_21rocsparse_index_base_b20rocsparse_diag_type_S4_PS1_PS7_SA_, .Lfunc_end43-_ZN9rocsparseL28internal_extract_fill_kernelILj1024EillEEvT2_PKT1_PKS1_PKT0_21rocsparse_index_base_b20rocsparse_diag_type_S4_PS1_PS7_SA_
                                        ; -- End function
	.set _ZN9rocsparseL28internal_extract_fill_kernelILj1024EillEEvT2_PKT1_PKS1_PKT0_21rocsparse_index_base_b20rocsparse_diag_type_S4_PS1_PS7_SA_.num_vgpr, 21
	.set _ZN9rocsparseL28internal_extract_fill_kernelILj1024EillEEvT2_PKT1_PKS1_PKT0_21rocsparse_index_base_b20rocsparse_diag_type_S4_PS1_PS7_SA_.num_agpr, 0
	.set _ZN9rocsparseL28internal_extract_fill_kernelILj1024EillEEvT2_PKT1_PKS1_PKT0_21rocsparse_index_base_b20rocsparse_diag_type_S4_PS1_PS7_SA_.numbered_sgpr, 19
	.set _ZN9rocsparseL28internal_extract_fill_kernelILj1024EillEEvT2_PKT1_PKS1_PKT0_21rocsparse_index_base_b20rocsparse_diag_type_S4_PS1_PS7_SA_.num_named_barrier, 0
	.set _ZN9rocsparseL28internal_extract_fill_kernelILj1024EillEEvT2_PKT1_PKS1_PKT0_21rocsparse_index_base_b20rocsparse_diag_type_S4_PS1_PS7_SA_.private_seg_size, 0
	.set _ZN9rocsparseL28internal_extract_fill_kernelILj1024EillEEvT2_PKT1_PKS1_PKT0_21rocsparse_index_base_b20rocsparse_diag_type_S4_PS1_PS7_SA_.uses_vcc, 1
	.set _ZN9rocsparseL28internal_extract_fill_kernelILj1024EillEEvT2_PKT1_PKS1_PKT0_21rocsparse_index_base_b20rocsparse_diag_type_S4_PS1_PS7_SA_.uses_flat_scratch, 0
	.set _ZN9rocsparseL28internal_extract_fill_kernelILj1024EillEEvT2_PKT1_PKS1_PKT0_21rocsparse_index_base_b20rocsparse_diag_type_S4_PS1_PS7_SA_.has_dyn_sized_stack, 0
	.set _ZN9rocsparseL28internal_extract_fill_kernelILj1024EillEEvT2_PKT1_PKS1_PKT0_21rocsparse_index_base_b20rocsparse_diag_type_S4_PS1_PS7_SA_.has_recursion, 0
	.set _ZN9rocsparseL28internal_extract_fill_kernelILj1024EillEEvT2_PKT1_PKS1_PKT0_21rocsparse_index_base_b20rocsparse_diag_type_S4_PS1_PS7_SA_.has_indirect_call, 0
	.section	.AMDGPU.csdata,"",@progbits
; Kernel info:
; codeLenInByte = 612
; TotalNumSgprs: 23
; NumVgprs: 21
; ScratchSize: 0
; MemoryBound: 0
; FloatMode: 240
; IeeeMode: 1
; LDSByteSize: 0 bytes/workgroup (compile time only)
; SGPRBlocks: 2
; VGPRBlocks: 5
; NumSGPRsForWavesPerEU: 23
; NumVGPRsForWavesPerEU: 21
; Occupancy: 10
; WaveLimiterHint : 0
; COMPUTE_PGM_RSRC2:SCRATCH_EN: 0
; COMPUTE_PGM_RSRC2:USER_SGPR: 6
; COMPUTE_PGM_RSRC2:TRAP_HANDLER: 0
; COMPUTE_PGM_RSRC2:TGID_X_EN: 1
; COMPUTE_PGM_RSRC2:TGID_Y_EN: 0
; COMPUTE_PGM_RSRC2:TGID_Z_EN: 0
; COMPUTE_PGM_RSRC2:TIDIG_COMP_CNT: 0
	.section	.text._ZN9rocsparseL28internal_extract_fill_kernelILj1024EjiiEEvT2_PKT1_PKS1_PKT0_21rocsparse_index_base_b20rocsparse_diag_type_S4_PS1_PS7_SA_,"axG",@progbits,_ZN9rocsparseL28internal_extract_fill_kernelILj1024EjiiEEvT2_PKT1_PKS1_PKT0_21rocsparse_index_base_b20rocsparse_diag_type_S4_PS1_PS7_SA_,comdat
	.globl	_ZN9rocsparseL28internal_extract_fill_kernelILj1024EjiiEEvT2_PKT1_PKS1_PKT0_21rocsparse_index_base_b20rocsparse_diag_type_S4_PS1_PS7_SA_ ; -- Begin function _ZN9rocsparseL28internal_extract_fill_kernelILj1024EjiiEEvT2_PKT1_PKS1_PKT0_21rocsparse_index_base_b20rocsparse_diag_type_S4_PS1_PS7_SA_
	.p2align	8
	.type	_ZN9rocsparseL28internal_extract_fill_kernelILj1024EjiiEEvT2_PKT1_PKS1_PKT0_21rocsparse_index_base_b20rocsparse_diag_type_S4_PS1_PS7_SA_,@function
_ZN9rocsparseL28internal_extract_fill_kernelILj1024EjiiEEvT2_PKT1_PKS1_PKT0_21rocsparse_index_base_b20rocsparse_diag_type_S4_PS1_PS7_SA_: ; @_ZN9rocsparseL28internal_extract_fill_kernelILj1024EjiiEEvT2_PKT1_PKS1_PKT0_21rocsparse_index_base_b20rocsparse_diag_type_S4_PS1_PS7_SA_
; %bb.0:
	s_load_dword s0, s[4:5], 0x5c
	s_load_dword s1, s[4:5], 0x0
	s_waitcnt lgkmcnt(0)
	s_and_b32 s0, s0, 0xffff
	s_mul_i32 s6, s6, s0
	v_add_u32_e32 v0, s6, v0
	v_cmp_gt_i32_e32 vcc, s1, v0
	s_and_saveexec_b64 s[0:1], vcc
	s_cbranch_execz .LBB44_17
; %bb.1:
	s_load_dwordx2 s[0:1], s[4:5], 0x8
	v_ashrrev_i32_e32 v1, 31, v0
	v_lshlrev_b64 v[3:4], 2, v[0:1]
	s_waitcnt lgkmcnt(0)
	v_mov_b32_e32 v2, s1
	v_add_co_u32_e32 v1, vcc, s0, v3
	v_addc_co_u32_e32 v2, vcc, v2, v4, vcc
	global_load_dwordx2 v[1:2], v[1:2], off
	s_waitcnt vmcnt(0)
	v_cmp_lt_i32_e32 vcc, v1, v2
	s_and_b64 exec, exec, vcc
	s_cbranch_execz .LBB44_17
; %bb.2:
	s_load_dwordx4 s[0:3], s[4:5], 0x30
	s_waitcnt lgkmcnt(0)
	v_mov_b32_e32 v5, s1
	v_add_co_u32_e32 v3, vcc, s0, v3
	v_addc_co_u32_e32 v4, vcc, v5, v4, vcc
	global_load_dword v6, v[3:4], off
	s_load_dwordx8 s[8:15], s[4:5], 0x10
	s_load_dwordx2 s[0:1], s[4:5], 0x40
	s_load_dword s16, s[4:5], 0x48
	s_waitcnt lgkmcnt(0)
	v_subrev_u32_e32 v1, s12, v1
	v_subrev_u32_e32 v8, s12, v2
	v_ashrrev_i32_e32 v2, 31, v1
	v_lshlrev_b64 v[4:5], 2, v[1:2]
	s_bitcmp1_b32 s13, 0
	v_mov_b32_e32 v3, s9
	s_cselect_b64 s[4:5], -1, 0
	v_add_co_u32_e32 v2, vcc, s8, v4
	s_xor_b64 s[4:5], s[4:5], -1
	v_addc_co_u32_e32 v3, vcc, v3, v5, vcc
	v_mov_b32_e32 v7, s11
	s_cmp_lg_u32 s14, 1
	v_add_co_u32_e32 v4, vcc, s10, v4
	s_cselect_b64 s[6:7], -1, 0
	v_addc_co_u32_e32 v5, vcc, v7, v5, vcc
	s_mov_b64 s[8:9], 0
	s_waitcnt vmcnt(0)
	v_subrev_u32_e32 v6, s16, v6
	s_branch .LBB44_4
.LBB44_3:                               ;   in Loop: Header=BB44_4 Depth=1
	s_or_b64 exec, exec, s[14:15]
	v_add_co_u32_e32 v2, vcc, 4, v2
	v_add_u32_e32 v1, 1, v1
	v_addc_co_u32_e32 v3, vcc, 0, v3, vcc
	v_cmp_ge_i32_e32 vcc, v1, v8
	s_or_b64 s[8:9], vcc, s[8:9]
	v_add_co_u32_e32 v4, vcc, 4, v4
	v_addc_co_u32_e32 v5, vcc, 0, v5, vcc
	s_andn2_b64 exec, exec, s[8:9]
	s_cbranch_execz .LBB44_17
.LBB44_4:                               ; =>This Inner Loop Header: Depth=1
	global_load_dword v7, v[2:3], off
	s_and_b64 vcc, exec, s[4:5]
	s_mov_b64 s[14:15], -1
                                        ; implicit-def: $sgpr10_sgpr11
	s_waitcnt vmcnt(0)
	v_subrev_u32_e32 v9, s12, v7
	s_cbranch_vccz .LBB44_10
; %bb.5:                                ;   in Loop: Header=BB44_4 Depth=1
	s_and_b64 vcc, exec, s[6:7]
                                        ; implicit-def: $sgpr10_sgpr11
	s_cbranch_vccz .LBB44_7
; %bb.6:                                ;   in Loop: Header=BB44_4 Depth=1
	v_cmp_le_i32_e64 s[10:11], v0, v9
	s_mov_b64 s[14:15], 0
.LBB44_7:                               ;   in Loop: Header=BB44_4 Depth=1
	s_andn2_b64 vcc, exec, s[14:15]
	s_cbranch_vccnz .LBB44_9
; %bb.8:                                ;   in Loop: Header=BB44_4 Depth=1
	v_cmp_lt_i32_e32 vcc, v0, v9
	s_andn2_b64 s[10:11], s[10:11], exec
	s_and_b64 s[14:15], vcc, exec
	s_or_b64 s[10:11], s[10:11], s[14:15]
.LBB44_9:                               ;   in Loop: Header=BB44_4 Depth=1
	s_mov_b64 s[14:15], 0
.LBB44_10:                              ;   in Loop: Header=BB44_4 Depth=1
	s_andn2_b64 vcc, exec, s[14:15]
	s_cbranch_vccnz .LBB44_15
; %bb.11:                               ;   in Loop: Header=BB44_4 Depth=1
	s_mov_b64 s[14:15], -1
	s_and_b64 vcc, exec, s[6:7]
                                        ; implicit-def: $sgpr10_sgpr11
	s_cbranch_vccz .LBB44_13
; %bb.12:                               ;   in Loop: Header=BB44_4 Depth=1
	v_cmp_ge_i32_e64 s[10:11], v0, v9
	s_mov_b64 s[14:15], 0
.LBB44_13:                              ;   in Loop: Header=BB44_4 Depth=1
	s_andn2_b64 vcc, exec, s[14:15]
	s_cbranch_vccnz .LBB44_15
; %bb.14:                               ;   in Loop: Header=BB44_4 Depth=1
	v_cmp_gt_i32_e32 vcc, v0, v9
	s_andn2_b64 s[10:11], s[10:11], exec
	s_and_b64 s[14:15], vcc, exec
	s_or_b64 s[10:11], s[10:11], s[14:15]
.LBB44_15:                              ;   in Loop: Header=BB44_4 Depth=1
	s_and_saveexec_b64 s[14:15], s[10:11]
	s_cbranch_execz .LBB44_3
; %bb.16:                               ;   in Loop: Header=BB44_4 Depth=1
	global_load_dword v11, v[4:5], off
	v_ashrrev_i32_e32 v7, 31, v6
	v_add_u32_e32 v12, 1, v6
	v_lshlrev_b64 v[6:7], 2, v[6:7]
	v_mov_b32_e32 v10, s1
	v_add_u32_e32 v14, s16, v9
	v_add_co_u32_e32 v9, vcc, s0, v6
	v_addc_co_u32_e32 v10, vcc, v10, v7, vcc
	v_mov_b32_e32 v13, s3
	v_add_co_u32_e32 v6, vcc, s2, v6
	v_addc_co_u32_e32 v7, vcc, v13, v7, vcc
	global_store_dword v[6:7], v14, off
	s_waitcnt vmcnt(1)
	global_store_dword v[9:10], v11, off
	v_mov_b32_e32 v6, v12
	s_branch .LBB44_3
.LBB44_17:
	s_endpgm
	.section	.rodata,"a",@progbits
	.p2align	6, 0x0
	.amdhsa_kernel _ZN9rocsparseL28internal_extract_fill_kernelILj1024EjiiEEvT2_PKT1_PKS1_PKT0_21rocsparse_index_base_b20rocsparse_diag_type_S4_PS1_PS7_SA_
		.amdhsa_group_segment_fixed_size 0
		.amdhsa_private_segment_fixed_size 0
		.amdhsa_kernarg_size 336
		.amdhsa_user_sgpr_count 6
		.amdhsa_user_sgpr_private_segment_buffer 1
		.amdhsa_user_sgpr_dispatch_ptr 0
		.amdhsa_user_sgpr_queue_ptr 0
		.amdhsa_user_sgpr_kernarg_segment_ptr 1
		.amdhsa_user_sgpr_dispatch_id 0
		.amdhsa_user_sgpr_flat_scratch_init 0
		.amdhsa_user_sgpr_private_segment_size 0
		.amdhsa_uses_dynamic_stack 0
		.amdhsa_system_sgpr_private_segment_wavefront_offset 0
		.amdhsa_system_sgpr_workgroup_id_x 1
		.amdhsa_system_sgpr_workgroup_id_y 0
		.amdhsa_system_sgpr_workgroup_id_z 0
		.amdhsa_system_sgpr_workgroup_info 0
		.amdhsa_system_vgpr_workitem_id 0
		.amdhsa_next_free_vgpr 15
		.amdhsa_next_free_sgpr 17
		.amdhsa_reserve_vcc 1
		.amdhsa_reserve_flat_scratch 0
		.amdhsa_float_round_mode_32 0
		.amdhsa_float_round_mode_16_64 0
		.amdhsa_float_denorm_mode_32 3
		.amdhsa_float_denorm_mode_16_64 3
		.amdhsa_dx10_clamp 1
		.amdhsa_ieee_mode 1
		.amdhsa_fp16_overflow 0
		.amdhsa_exception_fp_ieee_invalid_op 0
		.amdhsa_exception_fp_denorm_src 0
		.amdhsa_exception_fp_ieee_div_zero 0
		.amdhsa_exception_fp_ieee_overflow 0
		.amdhsa_exception_fp_ieee_underflow 0
		.amdhsa_exception_fp_ieee_inexact 0
		.amdhsa_exception_int_div_zero 0
	.end_amdhsa_kernel
	.section	.text._ZN9rocsparseL28internal_extract_fill_kernelILj1024EjiiEEvT2_PKT1_PKS1_PKT0_21rocsparse_index_base_b20rocsparse_diag_type_S4_PS1_PS7_SA_,"axG",@progbits,_ZN9rocsparseL28internal_extract_fill_kernelILj1024EjiiEEvT2_PKT1_PKS1_PKT0_21rocsparse_index_base_b20rocsparse_diag_type_S4_PS1_PS7_SA_,comdat
.Lfunc_end44:
	.size	_ZN9rocsparseL28internal_extract_fill_kernelILj1024EjiiEEvT2_PKT1_PKS1_PKT0_21rocsparse_index_base_b20rocsparse_diag_type_S4_PS1_PS7_SA_, .Lfunc_end44-_ZN9rocsparseL28internal_extract_fill_kernelILj1024EjiiEEvT2_PKT1_PKS1_PKT0_21rocsparse_index_base_b20rocsparse_diag_type_S4_PS1_PS7_SA_
                                        ; -- End function
	.set _ZN9rocsparseL28internal_extract_fill_kernelILj1024EjiiEEvT2_PKT1_PKS1_PKT0_21rocsparse_index_base_b20rocsparse_diag_type_S4_PS1_PS7_SA_.num_vgpr, 15
	.set _ZN9rocsparseL28internal_extract_fill_kernelILj1024EjiiEEvT2_PKT1_PKS1_PKT0_21rocsparse_index_base_b20rocsparse_diag_type_S4_PS1_PS7_SA_.num_agpr, 0
	.set _ZN9rocsparseL28internal_extract_fill_kernelILj1024EjiiEEvT2_PKT1_PKS1_PKT0_21rocsparse_index_base_b20rocsparse_diag_type_S4_PS1_PS7_SA_.numbered_sgpr, 17
	.set _ZN9rocsparseL28internal_extract_fill_kernelILj1024EjiiEEvT2_PKT1_PKS1_PKT0_21rocsparse_index_base_b20rocsparse_diag_type_S4_PS1_PS7_SA_.num_named_barrier, 0
	.set _ZN9rocsparseL28internal_extract_fill_kernelILj1024EjiiEEvT2_PKT1_PKS1_PKT0_21rocsparse_index_base_b20rocsparse_diag_type_S4_PS1_PS7_SA_.private_seg_size, 0
	.set _ZN9rocsparseL28internal_extract_fill_kernelILj1024EjiiEEvT2_PKT1_PKS1_PKT0_21rocsparse_index_base_b20rocsparse_diag_type_S4_PS1_PS7_SA_.uses_vcc, 1
	.set _ZN9rocsparseL28internal_extract_fill_kernelILj1024EjiiEEvT2_PKT1_PKS1_PKT0_21rocsparse_index_base_b20rocsparse_diag_type_S4_PS1_PS7_SA_.uses_flat_scratch, 0
	.set _ZN9rocsparseL28internal_extract_fill_kernelILj1024EjiiEEvT2_PKT1_PKS1_PKT0_21rocsparse_index_base_b20rocsparse_diag_type_S4_PS1_PS7_SA_.has_dyn_sized_stack, 0
	.set _ZN9rocsparseL28internal_extract_fill_kernelILj1024EjiiEEvT2_PKT1_PKS1_PKT0_21rocsparse_index_base_b20rocsparse_diag_type_S4_PS1_PS7_SA_.has_recursion, 0
	.set _ZN9rocsparseL28internal_extract_fill_kernelILj1024EjiiEEvT2_PKT1_PKS1_PKT0_21rocsparse_index_base_b20rocsparse_diag_type_S4_PS1_PS7_SA_.has_indirect_call, 0
	.section	.AMDGPU.csdata,"",@progbits
; Kernel info:
; codeLenInByte = 512
; TotalNumSgprs: 21
; NumVgprs: 15
; ScratchSize: 0
; MemoryBound: 0
; FloatMode: 240
; IeeeMode: 1
; LDSByteSize: 0 bytes/workgroup (compile time only)
; SGPRBlocks: 2
; VGPRBlocks: 3
; NumSGPRsForWavesPerEU: 21
; NumVGPRsForWavesPerEU: 15
; Occupancy: 10
; WaveLimiterHint : 0
; COMPUTE_PGM_RSRC2:SCRATCH_EN: 0
; COMPUTE_PGM_RSRC2:USER_SGPR: 6
; COMPUTE_PGM_RSRC2:TRAP_HANDLER: 0
; COMPUTE_PGM_RSRC2:TGID_X_EN: 1
; COMPUTE_PGM_RSRC2:TGID_Y_EN: 0
; COMPUTE_PGM_RSRC2:TGID_Z_EN: 0
; COMPUTE_PGM_RSRC2:TIDIG_COMP_CNT: 0
	.section	.text._ZN9rocsparseL28internal_extract_fill_kernelILj1024EjilEEvT2_PKT1_PKS1_PKT0_21rocsparse_index_base_b20rocsparse_diag_type_S4_PS1_PS7_SA_,"axG",@progbits,_ZN9rocsparseL28internal_extract_fill_kernelILj1024EjilEEvT2_PKT1_PKS1_PKT0_21rocsparse_index_base_b20rocsparse_diag_type_S4_PS1_PS7_SA_,comdat
	.globl	_ZN9rocsparseL28internal_extract_fill_kernelILj1024EjilEEvT2_PKT1_PKS1_PKT0_21rocsparse_index_base_b20rocsparse_diag_type_S4_PS1_PS7_SA_ ; -- Begin function _ZN9rocsparseL28internal_extract_fill_kernelILj1024EjilEEvT2_PKT1_PKS1_PKT0_21rocsparse_index_base_b20rocsparse_diag_type_S4_PS1_PS7_SA_
	.p2align	8
	.type	_ZN9rocsparseL28internal_extract_fill_kernelILj1024EjilEEvT2_PKT1_PKS1_PKT0_21rocsparse_index_base_b20rocsparse_diag_type_S4_PS1_PS7_SA_,@function
_ZN9rocsparseL28internal_extract_fill_kernelILj1024EjilEEvT2_PKT1_PKS1_PKT0_21rocsparse_index_base_b20rocsparse_diag_type_S4_PS1_PS7_SA_: ; @_ZN9rocsparseL28internal_extract_fill_kernelILj1024EjilEEvT2_PKT1_PKS1_PKT0_21rocsparse_index_base_b20rocsparse_diag_type_S4_PS1_PS7_SA_
; %bb.0:
	s_load_dword s2, s[4:5], 0x5c
	s_load_dwordx2 s[0:1], s[4:5], 0x0
	s_waitcnt lgkmcnt(0)
	s_and_b32 s2, s2, 0xffff
	s_mul_i32 s6, s6, s2
	v_add_u32_e32 v0, s6, v0
	v_ashrrev_i32_e32 v1, 31, v0
	v_cmp_gt_i64_e32 vcc, s[0:1], v[0:1]
	s_and_saveexec_b64 s[0:1], vcc
	s_cbranch_execz .LBB45_17
; %bb.1:
	s_load_dwordx2 s[0:1], s[4:5], 0x8
	v_lshlrev_b64 v[4:5], 2, v[0:1]
	s_waitcnt lgkmcnt(0)
	v_mov_b32_e32 v3, s1
	v_add_co_u32_e32 v2, vcc, s0, v4
	v_addc_co_u32_e32 v3, vcc, v3, v5, vcc
	global_load_dwordx2 v[2:3], v[2:3], off
	s_waitcnt vmcnt(0)
	v_cmp_lt_i32_e32 vcc, v2, v3
	s_and_b64 exec, exec, vcc
	s_cbranch_execz .LBB45_17
; %bb.2:
	s_load_dwordx4 s[0:3], s[4:5], 0x30
	s_waitcnt lgkmcnt(0)
	v_mov_b32_e32 v6, s1
	v_add_co_u32_e32 v4, vcc, s0, v4
	v_addc_co_u32_e32 v5, vcc, v6, v5, vcc
	global_load_dword v8, v[4:5], off
	s_load_dwordx8 s[8:15], s[4:5], 0x10
	s_load_dwordx2 s[6:7], s[4:5], 0x40
	s_load_dword s18, s[4:5], 0x48
	s_waitcnt lgkmcnt(0)
	v_subrev_u32_e32 v2, s12, v2
	v_subrev_u32_e32 v11, s12, v3
	v_ashrrev_i32_e32 v3, 31, v2
	v_lshlrev_b64 v[4:5], 3, v[2:3]
	s_bitcmp1_b32 s13, 0
	v_mov_b32_e32 v9, s9
	s_cselect_b64 s[0:1], -1, 0
	v_lshlrev_b64 v[6:7], 2, v[2:3]
	v_add_co_u32_e32 v3, vcc, s8, v4
	s_xor_b64 s[4:5], s[0:1], -1
	v_addc_co_u32_e32 v4, vcc, v9, v5, vcc
	v_mov_b32_e32 v10, s11
	s_cmp_lg_u32 s14, 1
	v_add_co_u32_e32 v5, vcc, s10, v6
	s_cselect_b64 s[14:15], -1, 0
	v_addc_co_u32_e32 v6, vcc, v10, v7, vcc
	s_mov_b64 s[8:9], 0
	s_waitcnt vmcnt(0)
	v_subrev_u32_e32 v7, s18, v8
	s_branch .LBB45_4
.LBB45_3:                               ;   in Loop: Header=BB45_4 Depth=1
	s_or_b64 exec, exec, s[0:1]
	v_add_co_u32_e32 v3, vcc, 8, v3
	v_add_u32_e32 v2, 1, v2
	v_addc_co_u32_e32 v4, vcc, 0, v4, vcc
	v_cmp_ge_i32_e32 vcc, v2, v11
	s_or_b64 s[8:9], vcc, s[8:9]
	v_add_co_u32_e32 v5, vcc, 4, v5
	v_addc_co_u32_e32 v6, vcc, 0, v6, vcc
	s_andn2_b64 exec, exec, s[8:9]
	s_cbranch_execz .LBB45_17
.LBB45_4:                               ; =>This Inner Loop Header: Depth=1
	global_load_dwordx2 v[9:10], v[3:4], off
	s_and_b64 vcc, exec, s[4:5]
	s_mov_b64 s[16:17], -1
                                        ; implicit-def: $sgpr10_sgpr11
	s_waitcnt vmcnt(0)
	v_subrev_co_u32_e64 v9, s[0:1], s12, v9
	v_subbrev_co_u32_e64 v10, s[0:1], 0, v10, s[0:1]
	s_cbranch_vccz .LBB45_10
; %bb.5:                                ;   in Loop: Header=BB45_4 Depth=1
	s_mov_b64 s[0:1], -1
	s_and_b64 vcc, exec, s[14:15]
                                        ; implicit-def: $sgpr10_sgpr11
	s_cbranch_vccz .LBB45_7
; %bb.6:                                ;   in Loop: Header=BB45_4 Depth=1
	v_cmp_ge_i64_e64 s[10:11], v[9:10], v[0:1]
	s_mov_b64 s[0:1], 0
.LBB45_7:                               ;   in Loop: Header=BB45_4 Depth=1
	s_andn2_b64 vcc, exec, s[0:1]
	s_cbranch_vccnz .LBB45_9
; %bb.8:                                ;   in Loop: Header=BB45_4 Depth=1
	v_cmp_gt_i64_e32 vcc, v[9:10], v[0:1]
	s_andn2_b64 s[0:1], s[10:11], exec
	s_and_b64 s[10:11], vcc, exec
	s_or_b64 s[10:11], s[0:1], s[10:11]
.LBB45_9:                               ;   in Loop: Header=BB45_4 Depth=1
	s_mov_b64 s[16:17], 0
.LBB45_10:                              ;   in Loop: Header=BB45_4 Depth=1
	s_andn2_b64 vcc, exec, s[16:17]
	s_cbranch_vccnz .LBB45_15
; %bb.11:                               ;   in Loop: Header=BB45_4 Depth=1
	s_mov_b64 s[0:1], -1
	s_and_b64 vcc, exec, s[14:15]
                                        ; implicit-def: $sgpr10_sgpr11
	s_cbranch_vccz .LBB45_13
; %bb.12:                               ;   in Loop: Header=BB45_4 Depth=1
	v_cmp_le_i64_e64 s[10:11], v[9:10], v[0:1]
	s_mov_b64 s[0:1], 0
.LBB45_13:                              ;   in Loop: Header=BB45_4 Depth=1
	s_andn2_b64 vcc, exec, s[0:1]
	s_cbranch_vccnz .LBB45_15
; %bb.14:                               ;   in Loop: Header=BB45_4 Depth=1
	v_cmp_lt_i64_e32 vcc, v[9:10], v[0:1]
	s_andn2_b64 s[0:1], s[10:11], exec
	s_and_b64 s[10:11], vcc, exec
	s_or_b64 s[10:11], s[0:1], s[10:11]
.LBB45_15:                              ;   in Loop: Header=BB45_4 Depth=1
	s_and_saveexec_b64 s[0:1], s[10:11]
	s_cbranch_execz .LBB45_3
; %bb.16:                               ;   in Loop: Header=BB45_4 Depth=1
	global_load_dword v14, v[5:6], off
	v_ashrrev_i32_e32 v8, 31, v7
	v_add_co_u32_e32 v9, vcc, s18, v9
	v_lshlrev_b64 v[12:13], 2, v[7:8]
	v_addc_co_u32_e32 v10, vcc, 0, v10, vcc
	v_add_u32_e32 v15, 1, v7
	v_mov_b32_e32 v16, s7
	v_lshlrev_b64 v[7:8], 3, v[7:8]
	v_add_co_u32_e32 v12, vcc, s6, v12
	v_addc_co_u32_e32 v13, vcc, v16, v13, vcc
	v_mov_b32_e32 v17, s3
	v_add_co_u32_e32 v7, vcc, s2, v7
	v_addc_co_u32_e32 v8, vcc, v17, v8, vcc
	global_store_dwordx2 v[7:8], v[9:10], off
	s_waitcnt vmcnt(1)
	global_store_dword v[12:13], v14, off
	v_mov_b32_e32 v7, v15
	s_branch .LBB45_3
.LBB45_17:
	s_endpgm
	.section	.rodata,"a",@progbits
	.p2align	6, 0x0
	.amdhsa_kernel _ZN9rocsparseL28internal_extract_fill_kernelILj1024EjilEEvT2_PKT1_PKS1_PKT0_21rocsparse_index_base_b20rocsparse_diag_type_S4_PS1_PS7_SA_
		.amdhsa_group_segment_fixed_size 0
		.amdhsa_private_segment_fixed_size 0
		.amdhsa_kernarg_size 336
		.amdhsa_user_sgpr_count 6
		.amdhsa_user_sgpr_private_segment_buffer 1
		.amdhsa_user_sgpr_dispatch_ptr 0
		.amdhsa_user_sgpr_queue_ptr 0
		.amdhsa_user_sgpr_kernarg_segment_ptr 1
		.amdhsa_user_sgpr_dispatch_id 0
		.amdhsa_user_sgpr_flat_scratch_init 0
		.amdhsa_user_sgpr_private_segment_size 0
		.amdhsa_uses_dynamic_stack 0
		.amdhsa_system_sgpr_private_segment_wavefront_offset 0
		.amdhsa_system_sgpr_workgroup_id_x 1
		.amdhsa_system_sgpr_workgroup_id_y 0
		.amdhsa_system_sgpr_workgroup_id_z 0
		.amdhsa_system_sgpr_workgroup_info 0
		.amdhsa_system_vgpr_workitem_id 0
		.amdhsa_next_free_vgpr 18
		.amdhsa_next_free_sgpr 19
		.amdhsa_reserve_vcc 1
		.amdhsa_reserve_flat_scratch 0
		.amdhsa_float_round_mode_32 0
		.amdhsa_float_round_mode_16_64 0
		.amdhsa_float_denorm_mode_32 3
		.amdhsa_float_denorm_mode_16_64 3
		.amdhsa_dx10_clamp 1
		.amdhsa_ieee_mode 1
		.amdhsa_fp16_overflow 0
		.amdhsa_exception_fp_ieee_invalid_op 0
		.amdhsa_exception_fp_denorm_src 0
		.amdhsa_exception_fp_ieee_div_zero 0
		.amdhsa_exception_fp_ieee_overflow 0
		.amdhsa_exception_fp_ieee_underflow 0
		.amdhsa_exception_fp_ieee_inexact 0
		.amdhsa_exception_int_div_zero 0
	.end_amdhsa_kernel
	.section	.text._ZN9rocsparseL28internal_extract_fill_kernelILj1024EjilEEvT2_PKT1_PKS1_PKT0_21rocsparse_index_base_b20rocsparse_diag_type_S4_PS1_PS7_SA_,"axG",@progbits,_ZN9rocsparseL28internal_extract_fill_kernelILj1024EjilEEvT2_PKT1_PKS1_PKT0_21rocsparse_index_base_b20rocsparse_diag_type_S4_PS1_PS7_SA_,comdat
.Lfunc_end45:
	.size	_ZN9rocsparseL28internal_extract_fill_kernelILj1024EjilEEvT2_PKT1_PKS1_PKT0_21rocsparse_index_base_b20rocsparse_diag_type_S4_PS1_PS7_SA_, .Lfunc_end45-_ZN9rocsparseL28internal_extract_fill_kernelILj1024EjilEEvT2_PKT1_PKS1_PKT0_21rocsparse_index_base_b20rocsparse_diag_type_S4_PS1_PS7_SA_
                                        ; -- End function
	.set _ZN9rocsparseL28internal_extract_fill_kernelILj1024EjilEEvT2_PKT1_PKS1_PKT0_21rocsparse_index_base_b20rocsparse_diag_type_S4_PS1_PS7_SA_.num_vgpr, 18
	.set _ZN9rocsparseL28internal_extract_fill_kernelILj1024EjilEEvT2_PKT1_PKS1_PKT0_21rocsparse_index_base_b20rocsparse_diag_type_S4_PS1_PS7_SA_.num_agpr, 0
	.set _ZN9rocsparseL28internal_extract_fill_kernelILj1024EjilEEvT2_PKT1_PKS1_PKT0_21rocsparse_index_base_b20rocsparse_diag_type_S4_PS1_PS7_SA_.numbered_sgpr, 19
	.set _ZN9rocsparseL28internal_extract_fill_kernelILj1024EjilEEvT2_PKT1_PKS1_PKT0_21rocsparse_index_base_b20rocsparse_diag_type_S4_PS1_PS7_SA_.num_named_barrier, 0
	.set _ZN9rocsparseL28internal_extract_fill_kernelILj1024EjilEEvT2_PKT1_PKS1_PKT0_21rocsparse_index_base_b20rocsparse_diag_type_S4_PS1_PS7_SA_.private_seg_size, 0
	.set _ZN9rocsparseL28internal_extract_fill_kernelILj1024EjilEEvT2_PKT1_PKS1_PKT0_21rocsparse_index_base_b20rocsparse_diag_type_S4_PS1_PS7_SA_.uses_vcc, 1
	.set _ZN9rocsparseL28internal_extract_fill_kernelILj1024EjilEEvT2_PKT1_PKS1_PKT0_21rocsparse_index_base_b20rocsparse_diag_type_S4_PS1_PS7_SA_.uses_flat_scratch, 0
	.set _ZN9rocsparseL28internal_extract_fill_kernelILj1024EjilEEvT2_PKT1_PKS1_PKT0_21rocsparse_index_base_b20rocsparse_diag_type_S4_PS1_PS7_SA_.has_dyn_sized_stack, 0
	.set _ZN9rocsparseL28internal_extract_fill_kernelILj1024EjilEEvT2_PKT1_PKS1_PKT0_21rocsparse_index_base_b20rocsparse_diag_type_S4_PS1_PS7_SA_.has_recursion, 0
	.set _ZN9rocsparseL28internal_extract_fill_kernelILj1024EjilEEvT2_PKT1_PKS1_PKT0_21rocsparse_index_base_b20rocsparse_diag_type_S4_PS1_PS7_SA_.has_indirect_call, 0
	.section	.AMDGPU.csdata,"",@progbits
; Kernel info:
; codeLenInByte = 548
; TotalNumSgprs: 23
; NumVgprs: 18
; ScratchSize: 0
; MemoryBound: 0
; FloatMode: 240
; IeeeMode: 1
; LDSByteSize: 0 bytes/workgroup (compile time only)
; SGPRBlocks: 2
; VGPRBlocks: 4
; NumSGPRsForWavesPerEU: 23
; NumVGPRsForWavesPerEU: 18
; Occupancy: 10
; WaveLimiterHint : 0
; COMPUTE_PGM_RSRC2:SCRATCH_EN: 0
; COMPUTE_PGM_RSRC2:USER_SGPR: 6
; COMPUTE_PGM_RSRC2:TRAP_HANDLER: 0
; COMPUTE_PGM_RSRC2:TGID_X_EN: 1
; COMPUTE_PGM_RSRC2:TGID_Y_EN: 0
; COMPUTE_PGM_RSRC2:TGID_Z_EN: 0
; COMPUTE_PGM_RSRC2:TIDIG_COMP_CNT: 0
	.section	.text._ZN9rocsparseL28internal_extract_fill_kernelILj1024EjliEEvT2_PKT1_PKS1_PKT0_21rocsparse_index_base_b20rocsparse_diag_type_S4_PS1_PS7_SA_,"axG",@progbits,_ZN9rocsparseL28internal_extract_fill_kernelILj1024EjliEEvT2_PKT1_PKS1_PKT0_21rocsparse_index_base_b20rocsparse_diag_type_S4_PS1_PS7_SA_,comdat
	.globl	_ZN9rocsparseL28internal_extract_fill_kernelILj1024EjliEEvT2_PKT1_PKS1_PKT0_21rocsparse_index_base_b20rocsparse_diag_type_S4_PS1_PS7_SA_ ; -- Begin function _ZN9rocsparseL28internal_extract_fill_kernelILj1024EjliEEvT2_PKT1_PKS1_PKT0_21rocsparse_index_base_b20rocsparse_diag_type_S4_PS1_PS7_SA_
	.p2align	8
	.type	_ZN9rocsparseL28internal_extract_fill_kernelILj1024EjliEEvT2_PKT1_PKS1_PKT0_21rocsparse_index_base_b20rocsparse_diag_type_S4_PS1_PS7_SA_,@function
_ZN9rocsparseL28internal_extract_fill_kernelILj1024EjliEEvT2_PKT1_PKS1_PKT0_21rocsparse_index_base_b20rocsparse_diag_type_S4_PS1_PS7_SA_: ; @_ZN9rocsparseL28internal_extract_fill_kernelILj1024EjliEEvT2_PKT1_PKS1_PKT0_21rocsparse_index_base_b20rocsparse_diag_type_S4_PS1_PS7_SA_
; %bb.0:
	s_load_dword s0, s[4:5], 0x0
	s_load_dword s2, s[4:5], 0x5c
	v_mov_b32_e32 v5, 0
	s_waitcnt lgkmcnt(0)
	s_ashr_i32 s1, s0, 31
	s_and_b32 s2, s2, 0xffff
	s_mul_i32 s6, s6, s2
	v_add_u32_e32 v4, s6, v0
	v_cmp_gt_i64_e32 vcc, s[0:1], v[4:5]
	s_and_saveexec_b64 s[0:1], vcc
	s_cbranch_execz .LBB46_17
; %bb.1:
	s_load_dwordx2 s[0:1], s[4:5], 0x8
	v_lshlrev_b64 v[5:6], 3, v[4:5]
	s_waitcnt lgkmcnt(0)
	v_mov_b32_e32 v1, s1
	v_add_co_u32_e32 v0, vcc, s0, v5
	v_addc_co_u32_e32 v1, vcc, v1, v6, vcc
	global_load_dwordx4 v[0:3], v[0:1], off
	s_waitcnt vmcnt(0)
	v_cmp_lt_i64_e32 vcc, v[0:1], v[2:3]
	s_and_b64 exec, exec, vcc
	s_cbranch_execz .LBB46_17
; %bb.2:
	s_load_dwordx4 s[0:3], s[4:5], 0x30
	s_waitcnt lgkmcnt(0)
	v_mov_b32_e32 v7, s1
	v_add_co_u32_e32 v5, vcc, s0, v5
	v_addc_co_u32_e32 v6, vcc, v7, v6, vcc
	global_load_dwordx2 v[9:10], v[5:6], off
	s_load_dwordx8 s[8:15], s[4:5], 0x10
	s_load_dwordx2 s[6:7], s[4:5], 0x40
	s_load_dword s16, s[4:5], 0x48
	s_mov_b32 s1, 0
	v_lshlrev_b64 v[5:6], 2, v[0:1]
	s_waitcnt lgkmcnt(0)
	s_bitcmp1_b32 s13, 0
	v_subrev_co_u32_e32 v2, vcc, s12, v2
	s_cselect_b64 s[4:5], -1, 0
	v_subbrev_co_u32_e32 v3, vcc, 0, v3, vcc
	s_xor_b64 s[4:5], s[4:5], -1
	s_mov_b32 s0, s12
	v_subrev_co_u32_e32 v0, vcc, s12, v0
	s_cmp_lg_u32 s14, 1
	v_subbrev_co_u32_e32 v1, vcc, 0, v1, vcc
	s_cselect_b64 s[14:15], -1, 0
	s_lshl_b64 s[0:1], s[0:1], 2
	v_mov_b32_e32 v11, s1
	v_subrev_co_u32_e32 v12, vcc, s0, v5
	v_subb_co_u32_e32 v11, vcc, v6, v11, vcc
	v_mov_b32_e32 v7, s11
	v_add_co_u32_e32 v5, vcc, s10, v12
	v_addc_co_u32_e32 v6, vcc, v7, v11, vcc
	v_mov_b32_e32 v8, s9
	v_add_co_u32_e32 v7, vcc, s8, v12
	v_addc_co_u32_e32 v8, vcc, v8, v11, vcc
	s_mov_b64 s[8:9], 0
	s_waitcnt vmcnt(0)
	v_subrev_co_u32_e32 v9, vcc, s16, v9
	v_subbrev_co_u32_e32 v10, vcc, 0, v10, vcc
	s_branch .LBB46_4
.LBB46_3:                               ;   in Loop: Header=BB46_4 Depth=1
	s_or_b64 exec, exec, s[10:11]
	v_add_co_u32_e32 v0, vcc, 1, v0
	v_addc_co_u32_e32 v1, vcc, 0, v1, vcc
	v_cmp_ge_i64_e32 vcc, v[0:1], v[2:3]
	v_add_co_u32_e64 v5, s[0:1], 4, v5
	s_or_b64 s[8:9], vcc, s[8:9]
	v_add_co_u32_e32 v7, vcc, 4, v7
	v_addc_co_u32_e64 v6, s[0:1], 0, v6, s[0:1]
	v_addc_co_u32_e32 v8, vcc, 0, v8, vcc
	s_andn2_b64 exec, exec, s[8:9]
	s_cbranch_execz .LBB46_17
.LBB46_4:                               ; =>This Inner Loop Header: Depth=1
	global_load_dword v11, v[7:8], off
	s_and_b64 vcc, exec, s[4:5]
	s_mov_b64 s[10:11], -1
                                        ; implicit-def: $sgpr0_sgpr1
	s_waitcnt vmcnt(0)
	v_subrev_u32_e32 v11, s12, v11
	s_cbranch_vccz .LBB46_10
; %bb.5:                                ;   in Loop: Header=BB46_4 Depth=1
	s_and_b64 vcc, exec, s[14:15]
                                        ; implicit-def: $sgpr0_sgpr1
	s_cbranch_vccz .LBB46_7
; %bb.6:                                ;   in Loop: Header=BB46_4 Depth=1
	v_cmp_le_i32_e64 s[0:1], v4, v11
	s_mov_b64 s[10:11], 0
.LBB46_7:                               ;   in Loop: Header=BB46_4 Depth=1
	s_andn2_b64 vcc, exec, s[10:11]
	s_cbranch_vccnz .LBB46_9
; %bb.8:                                ;   in Loop: Header=BB46_4 Depth=1
	v_cmp_lt_i32_e32 vcc, v4, v11
	s_andn2_b64 s[0:1], s[0:1], exec
	s_and_b64 s[10:11], vcc, exec
	s_or_b64 s[0:1], s[0:1], s[10:11]
.LBB46_9:                               ;   in Loop: Header=BB46_4 Depth=1
	s_mov_b64 s[10:11], 0
.LBB46_10:                              ;   in Loop: Header=BB46_4 Depth=1
	s_andn2_b64 vcc, exec, s[10:11]
	s_cbranch_vccnz .LBB46_15
; %bb.11:                               ;   in Loop: Header=BB46_4 Depth=1
	s_mov_b64 s[10:11], -1
	s_and_b64 vcc, exec, s[14:15]
                                        ; implicit-def: $sgpr0_sgpr1
	s_cbranch_vccz .LBB46_13
; %bb.12:                               ;   in Loop: Header=BB46_4 Depth=1
	v_cmp_ge_i32_e64 s[0:1], v4, v11
	s_mov_b64 s[10:11], 0
.LBB46_13:                              ;   in Loop: Header=BB46_4 Depth=1
	s_andn2_b64 vcc, exec, s[10:11]
	s_cbranch_vccnz .LBB46_15
; %bb.14:                               ;   in Loop: Header=BB46_4 Depth=1
	v_cmp_gt_i32_e32 vcc, v4, v11
	s_andn2_b64 s[0:1], s[0:1], exec
	s_and_b64 s[10:11], vcc, exec
	s_or_b64 s[0:1], s[0:1], s[10:11]
.LBB46_15:                              ;   in Loop: Header=BB46_4 Depth=1
	s_and_saveexec_b64 s[10:11], s[0:1]
	s_cbranch_execz .LBB46_3
; %bb.16:                               ;   in Loop: Header=BB46_4 Depth=1
	global_load_dword v16, v[5:6], off
	v_add_co_u32_e32 v12, vcc, 1, v9
	v_addc_co_u32_e32 v13, vcc, 0, v10, vcc
	v_lshlrev_b64 v[9:10], 2, v[9:10]
	v_mov_b32_e32 v15, s7
	v_add_co_u32_e32 v14, vcc, s6, v9
	v_addc_co_u32_e32 v15, vcc, v15, v10, vcc
	v_mov_b32_e32 v17, s3
	v_add_co_u32_e32 v9, vcc, s2, v9
	v_add_u32_e32 v11, s16, v11
	v_addc_co_u32_e32 v10, vcc, v17, v10, vcc
	global_store_dword v[9:10], v11, off
	s_waitcnt vmcnt(1)
	global_store_dword v[14:15], v16, off
	v_mov_b32_e32 v9, v12
	v_mov_b32_e32 v10, v13
	s_branch .LBB46_3
.LBB46_17:
	s_endpgm
	.section	.rodata,"a",@progbits
	.p2align	6, 0x0
	.amdhsa_kernel _ZN9rocsparseL28internal_extract_fill_kernelILj1024EjliEEvT2_PKT1_PKS1_PKT0_21rocsparse_index_base_b20rocsparse_diag_type_S4_PS1_PS7_SA_
		.amdhsa_group_segment_fixed_size 0
		.amdhsa_private_segment_fixed_size 0
		.amdhsa_kernarg_size 336
		.amdhsa_user_sgpr_count 6
		.amdhsa_user_sgpr_private_segment_buffer 1
		.amdhsa_user_sgpr_dispatch_ptr 0
		.amdhsa_user_sgpr_queue_ptr 0
		.amdhsa_user_sgpr_kernarg_segment_ptr 1
		.amdhsa_user_sgpr_dispatch_id 0
		.amdhsa_user_sgpr_flat_scratch_init 0
		.amdhsa_user_sgpr_private_segment_size 0
		.amdhsa_uses_dynamic_stack 0
		.amdhsa_system_sgpr_private_segment_wavefront_offset 0
		.amdhsa_system_sgpr_workgroup_id_x 1
		.amdhsa_system_sgpr_workgroup_id_y 0
		.amdhsa_system_sgpr_workgroup_id_z 0
		.amdhsa_system_sgpr_workgroup_info 0
		.amdhsa_system_vgpr_workitem_id 0
		.amdhsa_next_free_vgpr 18
		.amdhsa_next_free_sgpr 17
		.amdhsa_reserve_vcc 1
		.amdhsa_reserve_flat_scratch 0
		.amdhsa_float_round_mode_32 0
		.amdhsa_float_round_mode_16_64 0
		.amdhsa_float_denorm_mode_32 3
		.amdhsa_float_denorm_mode_16_64 3
		.amdhsa_dx10_clamp 1
		.amdhsa_ieee_mode 1
		.amdhsa_fp16_overflow 0
		.amdhsa_exception_fp_ieee_invalid_op 0
		.amdhsa_exception_fp_denorm_src 0
		.amdhsa_exception_fp_ieee_div_zero 0
		.amdhsa_exception_fp_ieee_overflow 0
		.amdhsa_exception_fp_ieee_underflow 0
		.amdhsa_exception_fp_ieee_inexact 0
		.amdhsa_exception_int_div_zero 0
	.end_amdhsa_kernel
	.section	.text._ZN9rocsparseL28internal_extract_fill_kernelILj1024EjliEEvT2_PKT1_PKS1_PKT0_21rocsparse_index_base_b20rocsparse_diag_type_S4_PS1_PS7_SA_,"axG",@progbits,_ZN9rocsparseL28internal_extract_fill_kernelILj1024EjliEEvT2_PKT1_PKS1_PKT0_21rocsparse_index_base_b20rocsparse_diag_type_S4_PS1_PS7_SA_,comdat
.Lfunc_end46:
	.size	_ZN9rocsparseL28internal_extract_fill_kernelILj1024EjliEEvT2_PKT1_PKS1_PKT0_21rocsparse_index_base_b20rocsparse_diag_type_S4_PS1_PS7_SA_, .Lfunc_end46-_ZN9rocsparseL28internal_extract_fill_kernelILj1024EjliEEvT2_PKT1_PKS1_PKT0_21rocsparse_index_base_b20rocsparse_diag_type_S4_PS1_PS7_SA_
                                        ; -- End function
	.set _ZN9rocsparseL28internal_extract_fill_kernelILj1024EjliEEvT2_PKT1_PKS1_PKT0_21rocsparse_index_base_b20rocsparse_diag_type_S4_PS1_PS7_SA_.num_vgpr, 18
	.set _ZN9rocsparseL28internal_extract_fill_kernelILj1024EjliEEvT2_PKT1_PKS1_PKT0_21rocsparse_index_base_b20rocsparse_diag_type_S4_PS1_PS7_SA_.num_agpr, 0
	.set _ZN9rocsparseL28internal_extract_fill_kernelILj1024EjliEEvT2_PKT1_PKS1_PKT0_21rocsparse_index_base_b20rocsparse_diag_type_S4_PS1_PS7_SA_.numbered_sgpr, 17
	.set _ZN9rocsparseL28internal_extract_fill_kernelILj1024EjliEEvT2_PKT1_PKS1_PKT0_21rocsparse_index_base_b20rocsparse_diag_type_S4_PS1_PS7_SA_.num_named_barrier, 0
	.set _ZN9rocsparseL28internal_extract_fill_kernelILj1024EjliEEvT2_PKT1_PKS1_PKT0_21rocsparse_index_base_b20rocsparse_diag_type_S4_PS1_PS7_SA_.private_seg_size, 0
	.set _ZN9rocsparseL28internal_extract_fill_kernelILj1024EjliEEvT2_PKT1_PKS1_PKT0_21rocsparse_index_base_b20rocsparse_diag_type_S4_PS1_PS7_SA_.uses_vcc, 1
	.set _ZN9rocsparseL28internal_extract_fill_kernelILj1024EjliEEvT2_PKT1_PKS1_PKT0_21rocsparse_index_base_b20rocsparse_diag_type_S4_PS1_PS7_SA_.uses_flat_scratch, 0
	.set _ZN9rocsparseL28internal_extract_fill_kernelILj1024EjliEEvT2_PKT1_PKS1_PKT0_21rocsparse_index_base_b20rocsparse_diag_type_S4_PS1_PS7_SA_.has_dyn_sized_stack, 0
	.set _ZN9rocsparseL28internal_extract_fill_kernelILj1024EjliEEvT2_PKT1_PKS1_PKT0_21rocsparse_index_base_b20rocsparse_diag_type_S4_PS1_PS7_SA_.has_recursion, 0
	.set _ZN9rocsparseL28internal_extract_fill_kernelILj1024EjliEEvT2_PKT1_PKS1_PKT0_21rocsparse_index_base_b20rocsparse_diag_type_S4_PS1_PS7_SA_.has_indirect_call, 0
	.section	.AMDGPU.csdata,"",@progbits
; Kernel info:
; codeLenInByte = 564
; TotalNumSgprs: 21
; NumVgprs: 18
; ScratchSize: 0
; MemoryBound: 0
; FloatMode: 240
; IeeeMode: 1
; LDSByteSize: 0 bytes/workgroup (compile time only)
; SGPRBlocks: 2
; VGPRBlocks: 4
; NumSGPRsForWavesPerEU: 21
; NumVGPRsForWavesPerEU: 18
; Occupancy: 10
; WaveLimiterHint : 0
; COMPUTE_PGM_RSRC2:SCRATCH_EN: 0
; COMPUTE_PGM_RSRC2:USER_SGPR: 6
; COMPUTE_PGM_RSRC2:TRAP_HANDLER: 0
; COMPUTE_PGM_RSRC2:TGID_X_EN: 1
; COMPUTE_PGM_RSRC2:TGID_Y_EN: 0
; COMPUTE_PGM_RSRC2:TGID_Z_EN: 0
; COMPUTE_PGM_RSRC2:TIDIG_COMP_CNT: 0
	.section	.text._ZN9rocsparseL28internal_extract_fill_kernelILj1024EjllEEvT2_PKT1_PKS1_PKT0_21rocsparse_index_base_b20rocsparse_diag_type_S4_PS1_PS7_SA_,"axG",@progbits,_ZN9rocsparseL28internal_extract_fill_kernelILj1024EjllEEvT2_PKT1_PKS1_PKT0_21rocsparse_index_base_b20rocsparse_diag_type_S4_PS1_PS7_SA_,comdat
	.globl	_ZN9rocsparseL28internal_extract_fill_kernelILj1024EjllEEvT2_PKT1_PKS1_PKT0_21rocsparse_index_base_b20rocsparse_diag_type_S4_PS1_PS7_SA_ ; -- Begin function _ZN9rocsparseL28internal_extract_fill_kernelILj1024EjllEEvT2_PKT1_PKS1_PKT0_21rocsparse_index_base_b20rocsparse_diag_type_S4_PS1_PS7_SA_
	.p2align	8
	.type	_ZN9rocsparseL28internal_extract_fill_kernelILj1024EjllEEvT2_PKT1_PKS1_PKT0_21rocsparse_index_base_b20rocsparse_diag_type_S4_PS1_PS7_SA_,@function
_ZN9rocsparseL28internal_extract_fill_kernelILj1024EjllEEvT2_PKT1_PKS1_PKT0_21rocsparse_index_base_b20rocsparse_diag_type_S4_PS1_PS7_SA_: ; @_ZN9rocsparseL28internal_extract_fill_kernelILj1024EjllEEvT2_PKT1_PKS1_PKT0_21rocsparse_index_base_b20rocsparse_diag_type_S4_PS1_PS7_SA_
; %bb.0:
	s_load_dword s2, s[4:5], 0x5c
	s_load_dwordx2 s[0:1], s[4:5], 0x0
	v_mov_b32_e32 v5, 0
	s_waitcnt lgkmcnt(0)
	s_and_b32 s2, s2, 0xffff
	s_mul_i32 s6, s6, s2
	v_add_u32_e32 v4, s6, v0
	v_cmp_gt_i64_e32 vcc, s[0:1], v[4:5]
	s_and_saveexec_b64 s[0:1], vcc
	s_cbranch_execz .LBB47_17
; %bb.1:
	s_load_dwordx2 s[0:1], s[4:5], 0x8
	v_lshlrev_b64 v[6:7], 3, v[4:5]
	s_waitcnt lgkmcnt(0)
	v_mov_b32_e32 v1, s1
	v_add_co_u32_e32 v0, vcc, s0, v6
	v_addc_co_u32_e32 v1, vcc, v1, v7, vcc
	global_load_dwordx4 v[0:3], v[0:1], off
	s_waitcnt vmcnt(0)
	v_cmp_lt_i64_e32 vcc, v[0:1], v[2:3]
	s_and_b64 exec, exec, vcc
	s_cbranch_execz .LBB47_17
; %bb.2:
	s_load_dwordx4 s[0:3], s[4:5], 0x30
	s_waitcnt lgkmcnt(0)
	v_mov_b32_e32 v8, s1
	v_add_co_u32_e32 v6, vcc, s0, v6
	v_addc_co_u32_e32 v7, vcc, v8, v7, vcc
	global_load_dwordx2 v[10:11], v[6:7], off
	s_load_dwordx2 s[6:7], s[4:5], 0x40
	s_load_dwordx8 s[8:15], s[4:5], 0x10
	s_load_dword s18, s[4:5], 0x48
	v_lshlrev_b64 v[6:7], 2, v[0:1]
	v_lshlrev_b64 v[8:9], 3, v[0:1]
	s_mov_b32 s5, 0
	s_waitcnt lgkmcnt(0)
	v_subrev_co_u32_e32 v2, vcc, s12, v2
	s_bitcmp1_b32 s13, 0
	v_subbrev_co_u32_e32 v3, vcc, 0, v3, vcc
	s_cselect_b64 s[0:1], -1, 0
	s_mov_b32 s4, s12
	v_subrev_co_u32_e32 v0, vcc, s12, v0
	s_xor_b64 s[12:13], s[0:1], -1
	s_cmp_lg_u32 s14, 1
	v_subbrev_co_u32_e32 v1, vcc, 0, v1, vcc
	s_cselect_b64 s[14:15], -1, 0
	s_lshl_b64 s[0:1], s[4:5], 2
	v_mov_b32_e32 v14, s1
	v_subrev_co_u32_e32 v6, vcc, s0, v6
	s_lshl_b64 s[16:17], s[4:5], 3
	v_subb_co_u32_e32 v7, vcc, v7, v14, vcc
	v_mov_b32_e32 v15, s17
	v_subrev_co_u32_e32 v8, vcc, s16, v8
	v_subb_co_u32_e32 v9, vcc, v9, v15, vcc
	v_mov_b32_e32 v12, s11
	v_add_co_u32_e32 v6, vcc, s10, v6
	v_addc_co_u32_e32 v7, vcc, v12, v7, vcc
	v_mov_b32_e32 v13, s9
	v_add_co_u32_e32 v8, vcc, s8, v8
	v_addc_co_u32_e32 v9, vcc, v13, v9, vcc
	s_mov_b64 s[8:9], 0
	s_waitcnt vmcnt(0)
	v_subrev_co_u32_e32 v10, vcc, s18, v10
	v_subbrev_co_u32_e32 v11, vcc, 0, v11, vcc
	s_branch .LBB47_4
.LBB47_3:                               ;   in Loop: Header=BB47_4 Depth=1
	s_or_b64 exec, exec, s[0:1]
	v_add_co_u32_e32 v0, vcc, 1, v0
	v_addc_co_u32_e32 v1, vcc, 0, v1, vcc
	v_cmp_ge_i64_e32 vcc, v[0:1], v[2:3]
	v_add_co_u32_e64 v6, s[0:1], 4, v6
	s_or_b64 s[8:9], vcc, s[8:9]
	v_add_co_u32_e32 v8, vcc, 8, v8
	v_addc_co_u32_e64 v7, s[0:1], 0, v7, s[0:1]
	v_addc_co_u32_e32 v9, vcc, 0, v9, vcc
	s_andn2_b64 exec, exec, s[8:9]
	s_cbranch_execz .LBB47_17
.LBB47_4:                               ; =>This Inner Loop Header: Depth=1
	global_load_dwordx2 v[12:13], v[8:9], off
	s_and_b64 vcc, exec, s[12:13]
	s_mov_b64 s[16:17], -1
                                        ; implicit-def: $sgpr10_sgpr11
	s_waitcnt vmcnt(0)
	v_subrev_co_u32_e64 v12, s[0:1], s4, v12
	v_subbrev_co_u32_e64 v13, s[0:1], 0, v13, s[0:1]
	s_cbranch_vccz .LBB47_10
; %bb.5:                                ;   in Loop: Header=BB47_4 Depth=1
	s_mov_b64 s[0:1], -1
	s_and_b64 vcc, exec, s[14:15]
                                        ; implicit-def: $sgpr10_sgpr11
	s_cbranch_vccz .LBB47_7
; %bb.6:                                ;   in Loop: Header=BB47_4 Depth=1
	v_cmp_ge_i64_e64 s[10:11], v[12:13], v[4:5]
	s_mov_b64 s[0:1], 0
.LBB47_7:                               ;   in Loop: Header=BB47_4 Depth=1
	s_andn2_b64 vcc, exec, s[0:1]
	s_cbranch_vccnz .LBB47_9
; %bb.8:                                ;   in Loop: Header=BB47_4 Depth=1
	v_cmp_gt_i64_e32 vcc, v[12:13], v[4:5]
	s_andn2_b64 s[0:1], s[10:11], exec
	s_and_b64 s[10:11], vcc, exec
	s_or_b64 s[10:11], s[0:1], s[10:11]
.LBB47_9:                               ;   in Loop: Header=BB47_4 Depth=1
	s_mov_b64 s[16:17], 0
.LBB47_10:                              ;   in Loop: Header=BB47_4 Depth=1
	s_andn2_b64 vcc, exec, s[16:17]
	s_cbranch_vccnz .LBB47_15
; %bb.11:                               ;   in Loop: Header=BB47_4 Depth=1
	s_mov_b64 s[0:1], -1
	s_and_b64 vcc, exec, s[14:15]
                                        ; implicit-def: $sgpr10_sgpr11
	s_cbranch_vccz .LBB47_13
; %bb.12:                               ;   in Loop: Header=BB47_4 Depth=1
	v_cmp_le_i64_e64 s[10:11], v[12:13], v[4:5]
	s_mov_b64 s[0:1], 0
.LBB47_13:                              ;   in Loop: Header=BB47_4 Depth=1
	s_andn2_b64 vcc, exec, s[0:1]
	s_cbranch_vccnz .LBB47_15
; %bb.14:                               ;   in Loop: Header=BB47_4 Depth=1
	v_cmp_lt_i64_e32 vcc, v[12:13], v[4:5]
	s_andn2_b64 s[0:1], s[10:11], exec
	s_and_b64 s[10:11], vcc, exec
	s_or_b64 s[10:11], s[0:1], s[10:11]
.LBB47_15:                              ;   in Loop: Header=BB47_4 Depth=1
	s_and_saveexec_b64 s[0:1], s[10:11]
	s_cbranch_execz .LBB47_3
; %bb.16:                               ;   in Loop: Header=BB47_4 Depth=1
	global_load_dword v18, v[6:7], off
	v_add_co_u32_e32 v14, vcc, 1, v10
	v_addc_co_u32_e32 v15, vcc, 0, v11, vcc
	v_lshlrev_b64 v[16:17], 2, v[10:11]
	v_add_co_u32_e32 v12, vcc, s18, v12
	v_addc_co_u32_e32 v13, vcc, 0, v13, vcc
	v_mov_b32_e32 v19, s7
	v_lshlrev_b64 v[10:11], 3, v[10:11]
	v_add_co_u32_e32 v16, vcc, s6, v16
	v_addc_co_u32_e32 v17, vcc, v19, v17, vcc
	v_mov_b32_e32 v20, s3
	v_add_co_u32_e32 v10, vcc, s2, v10
	v_addc_co_u32_e32 v11, vcc, v20, v11, vcc
	global_store_dwordx2 v[10:11], v[12:13], off
	s_waitcnt vmcnt(1)
	global_store_dword v[16:17], v18, off
	v_mov_b32_e32 v10, v14
	v_mov_b32_e32 v11, v15
	s_branch .LBB47_3
.LBB47_17:
	s_endpgm
	.section	.rodata,"a",@progbits
	.p2align	6, 0x0
	.amdhsa_kernel _ZN9rocsparseL28internal_extract_fill_kernelILj1024EjllEEvT2_PKT1_PKS1_PKT0_21rocsparse_index_base_b20rocsparse_diag_type_S4_PS1_PS7_SA_
		.amdhsa_group_segment_fixed_size 0
		.amdhsa_private_segment_fixed_size 0
		.amdhsa_kernarg_size 336
		.amdhsa_user_sgpr_count 6
		.amdhsa_user_sgpr_private_segment_buffer 1
		.amdhsa_user_sgpr_dispatch_ptr 0
		.amdhsa_user_sgpr_queue_ptr 0
		.amdhsa_user_sgpr_kernarg_segment_ptr 1
		.amdhsa_user_sgpr_dispatch_id 0
		.amdhsa_user_sgpr_flat_scratch_init 0
		.amdhsa_user_sgpr_private_segment_size 0
		.amdhsa_uses_dynamic_stack 0
		.amdhsa_system_sgpr_private_segment_wavefront_offset 0
		.amdhsa_system_sgpr_workgroup_id_x 1
		.amdhsa_system_sgpr_workgroup_id_y 0
		.amdhsa_system_sgpr_workgroup_id_z 0
		.amdhsa_system_sgpr_workgroup_info 0
		.amdhsa_system_vgpr_workitem_id 0
		.amdhsa_next_free_vgpr 21
		.amdhsa_next_free_sgpr 19
		.amdhsa_reserve_vcc 1
		.amdhsa_reserve_flat_scratch 0
		.amdhsa_float_round_mode_32 0
		.amdhsa_float_round_mode_16_64 0
		.amdhsa_float_denorm_mode_32 3
		.amdhsa_float_denorm_mode_16_64 3
		.amdhsa_dx10_clamp 1
		.amdhsa_ieee_mode 1
		.amdhsa_fp16_overflow 0
		.amdhsa_exception_fp_ieee_invalid_op 0
		.amdhsa_exception_fp_denorm_src 0
		.amdhsa_exception_fp_ieee_div_zero 0
		.amdhsa_exception_fp_ieee_overflow 0
		.amdhsa_exception_fp_ieee_underflow 0
		.amdhsa_exception_fp_ieee_inexact 0
		.amdhsa_exception_int_div_zero 0
	.end_amdhsa_kernel
	.section	.text._ZN9rocsparseL28internal_extract_fill_kernelILj1024EjllEEvT2_PKT1_PKS1_PKT0_21rocsparse_index_base_b20rocsparse_diag_type_S4_PS1_PS7_SA_,"axG",@progbits,_ZN9rocsparseL28internal_extract_fill_kernelILj1024EjllEEvT2_PKT1_PKS1_PKT0_21rocsparse_index_base_b20rocsparse_diag_type_S4_PS1_PS7_SA_,comdat
.Lfunc_end47:
	.size	_ZN9rocsparseL28internal_extract_fill_kernelILj1024EjllEEvT2_PKT1_PKS1_PKT0_21rocsparse_index_base_b20rocsparse_diag_type_S4_PS1_PS7_SA_, .Lfunc_end47-_ZN9rocsparseL28internal_extract_fill_kernelILj1024EjllEEvT2_PKT1_PKS1_PKT0_21rocsparse_index_base_b20rocsparse_diag_type_S4_PS1_PS7_SA_
                                        ; -- End function
	.set _ZN9rocsparseL28internal_extract_fill_kernelILj1024EjllEEvT2_PKT1_PKS1_PKT0_21rocsparse_index_base_b20rocsparse_diag_type_S4_PS1_PS7_SA_.num_vgpr, 21
	.set _ZN9rocsparseL28internal_extract_fill_kernelILj1024EjllEEvT2_PKT1_PKS1_PKT0_21rocsparse_index_base_b20rocsparse_diag_type_S4_PS1_PS7_SA_.num_agpr, 0
	.set _ZN9rocsparseL28internal_extract_fill_kernelILj1024EjllEEvT2_PKT1_PKS1_PKT0_21rocsparse_index_base_b20rocsparse_diag_type_S4_PS1_PS7_SA_.numbered_sgpr, 19
	.set _ZN9rocsparseL28internal_extract_fill_kernelILj1024EjllEEvT2_PKT1_PKS1_PKT0_21rocsparse_index_base_b20rocsparse_diag_type_S4_PS1_PS7_SA_.num_named_barrier, 0
	.set _ZN9rocsparseL28internal_extract_fill_kernelILj1024EjllEEvT2_PKT1_PKS1_PKT0_21rocsparse_index_base_b20rocsparse_diag_type_S4_PS1_PS7_SA_.private_seg_size, 0
	.set _ZN9rocsparseL28internal_extract_fill_kernelILj1024EjllEEvT2_PKT1_PKS1_PKT0_21rocsparse_index_base_b20rocsparse_diag_type_S4_PS1_PS7_SA_.uses_vcc, 1
	.set _ZN9rocsparseL28internal_extract_fill_kernelILj1024EjllEEvT2_PKT1_PKS1_PKT0_21rocsparse_index_base_b20rocsparse_diag_type_S4_PS1_PS7_SA_.uses_flat_scratch, 0
	.set _ZN9rocsparseL28internal_extract_fill_kernelILj1024EjllEEvT2_PKT1_PKS1_PKT0_21rocsparse_index_base_b20rocsparse_diag_type_S4_PS1_PS7_SA_.has_dyn_sized_stack, 0
	.set _ZN9rocsparseL28internal_extract_fill_kernelILj1024EjllEEvT2_PKT1_PKS1_PKT0_21rocsparse_index_base_b20rocsparse_diag_type_S4_PS1_PS7_SA_.has_recursion, 0
	.set _ZN9rocsparseL28internal_extract_fill_kernelILj1024EjllEEvT2_PKT1_PKS1_PKT0_21rocsparse_index_base_b20rocsparse_diag_type_S4_PS1_PS7_SA_.has_indirect_call, 0
	.section	.AMDGPU.csdata,"",@progbits
; Kernel info:
; codeLenInByte = 612
; TotalNumSgprs: 23
; NumVgprs: 21
; ScratchSize: 0
; MemoryBound: 0
; FloatMode: 240
; IeeeMode: 1
; LDSByteSize: 0 bytes/workgroup (compile time only)
; SGPRBlocks: 2
; VGPRBlocks: 5
; NumSGPRsForWavesPerEU: 23
; NumVGPRsForWavesPerEU: 21
; Occupancy: 10
; WaveLimiterHint : 0
; COMPUTE_PGM_RSRC2:SCRATCH_EN: 0
; COMPUTE_PGM_RSRC2:USER_SGPR: 6
; COMPUTE_PGM_RSRC2:TRAP_HANDLER: 0
; COMPUTE_PGM_RSRC2:TGID_X_EN: 1
; COMPUTE_PGM_RSRC2:TGID_Y_EN: 0
; COMPUTE_PGM_RSRC2:TGID_Z_EN: 0
; COMPUTE_PGM_RSRC2:TIDIG_COMP_CNT: 0
	.section	.AMDGPU.gpr_maximums,"",@progbits
	.set amdgpu.max_num_vgpr, 0
	.set amdgpu.max_num_agpr, 0
	.set amdgpu.max_num_sgpr, 0
	.section	.AMDGPU.csdata,"",@progbits
	.type	__hip_cuid_7ef590f33b2cf193,@object ; @__hip_cuid_7ef590f33b2cf193
	.section	.bss,"aw",@nobits
	.globl	__hip_cuid_7ef590f33b2cf193
__hip_cuid_7ef590f33b2cf193:
	.byte	0                               ; 0x0
	.size	__hip_cuid_7ef590f33b2cf193, 1

	.ident	"AMD clang version 22.0.0git (https://github.com/RadeonOpenCompute/llvm-project roc-7.2.4 26084 f58b06dce1f9c15707c5f808fd002e18c2accf7e)"
	.section	".note.GNU-stack","",@progbits
	.addrsig
	.addrsig_sym __hip_cuid_7ef590f33b2cf193
	.amdgpu_metadata
---
amdhsa.kernels:
  - .args:
      - .offset:         0
        .size:           4
        .value_kind:     by_value
      - .actual_access:  read_only
        .address_space:  global
        .offset:         8
        .size:           8
        .value_kind:     global_buffer
      - .actual_access:  read_only
        .address_space:  global
        .offset:         16
        .size:           8
        .value_kind:     global_buffer
      - .offset:         24
        .size:           4
        .value_kind:     by_value
      - .offset:         28
        .size:           1
        .value_kind:     by_value
      - .offset:         32
        .size:           4
        .value_kind:     by_value
      - .actual_access:  write_only
        .address_space:  global
        .offset:         40
        .size:           8
        .value_kind:     global_buffer
      - .offset:         48
        .size:           4
        .value_kind:     hidden_block_count_x
      - .offset:         52
        .size:           4
        .value_kind:     hidden_block_count_y
      - .offset:         56
        .size:           4
        .value_kind:     hidden_block_count_z
      - .offset:         60
        .size:           2
        .value_kind:     hidden_group_size_x
      - .offset:         62
        .size:           2
        .value_kind:     hidden_group_size_y
      - .offset:         64
        .size:           2
        .value_kind:     hidden_group_size_z
      - .offset:         66
        .size:           2
        .value_kind:     hidden_remainder_x
      - .offset:         68
        .size:           2
        .value_kind:     hidden_remainder_y
      - .offset:         70
        .size:           2
        .value_kind:     hidden_remainder_z
      - .offset:         88
        .size:           8
        .value_kind:     hidden_global_offset_x
      - .offset:         96
        .size:           8
        .value_kind:     hidden_global_offset_y
      - .offset:         104
        .size:           8
        .value_kind:     hidden_global_offset_z
      - .offset:         112
        .size:           2
        .value_kind:     hidden_grid_dims
    .group_segment_fixed_size: 0
    .kernarg_segment_align: 8
    .kernarg_segment_size: 304
    .language:       OpenCL C
    .language_version:
      - 2
      - 0
    .max_flat_workgroup_size: 1024
    .name:           _ZN9rocsparseL20extract_count_kernelILj1024EiiEEvT1_PKT0_PKS1_21rocsparse_index_base_b20rocsparse_diag_type_PS2_
    .private_segment_fixed_size: 0
    .sgpr_count:     20
    .sgpr_spill_count: 0
    .symbol:         _ZN9rocsparseL20extract_count_kernelILj1024EiiEEvT1_PKT0_PKS1_21rocsparse_index_base_b20rocsparse_diag_type_PS2_.kd
    .uniform_work_group_size: 1
    .uses_dynamic_stack: false
    .vgpr_count:     9
    .vgpr_spill_count: 0
    .wavefront_size: 64
  - .args:
      - .offset:         0
        .size:           4
        .value_kind:     by_value
      - .actual_access:  read_only
        .address_space:  global
        .offset:         8
        .size:           8
        .value_kind:     global_buffer
      - .offset:         16
        .size:           4
        .value_kind:     by_value
      - .actual_access:  write_only
        .address_space:  global
        .offset:         24
        .size:           8
        .value_kind:     global_buffer
    .group_segment_fixed_size: 0
    .kernarg_segment_align: 8
    .kernarg_segment_size: 32
    .language:       OpenCL C
    .language_version:
      - 2
      - 0
    .max_flat_workgroup_size: 1
    .name:           _ZN9rocsparseL23extract_grab_nnz_kernelIiiEEvT0_PKT_21rocsparse_index_base_Pl
    .private_segment_fixed_size: 0
    .sgpr_count:     13
    .sgpr_spill_count: 0
    .symbol:         _ZN9rocsparseL23extract_grab_nnz_kernelIiiEEvT0_PKT_21rocsparse_index_base_Pl.kd
    .uniform_work_group_size: 1
    .uses_dynamic_stack: false
    .vgpr_count:     3
    .vgpr_spill_count: 0
    .wavefront_size: 64
  - .args:
      - .offset:         0
        .size:           8
        .value_kind:     by_value
      - .actual_access:  read_only
        .address_space:  global
        .offset:         8
        .size:           8
        .value_kind:     global_buffer
      - .actual_access:  read_only
        .address_space:  global
        .offset:         16
        .size:           8
        .value_kind:     global_buffer
      - .offset:         24
        .size:           4
        .value_kind:     by_value
      - .offset:         28
        .size:           1
        .value_kind:     by_value
      - .offset:         32
        .size:           4
        .value_kind:     by_value
      - .actual_access:  write_only
        .address_space:  global
        .offset:         40
        .size:           8
        .value_kind:     global_buffer
      - .offset:         48
        .size:           4
        .value_kind:     hidden_block_count_x
      - .offset:         52
        .size:           4
        .value_kind:     hidden_block_count_y
      - .offset:         56
        .size:           4
        .value_kind:     hidden_block_count_z
      - .offset:         60
        .size:           2
        .value_kind:     hidden_group_size_x
      - .offset:         62
        .size:           2
        .value_kind:     hidden_group_size_y
      - .offset:         64
        .size:           2
        .value_kind:     hidden_group_size_z
      - .offset:         66
        .size:           2
        .value_kind:     hidden_remainder_x
      - .offset:         68
        .size:           2
        .value_kind:     hidden_remainder_y
      - .offset:         70
        .size:           2
        .value_kind:     hidden_remainder_z
      - .offset:         88
        .size:           8
        .value_kind:     hidden_global_offset_x
      - .offset:         96
        .size:           8
        .value_kind:     hidden_global_offset_y
      - .offset:         104
        .size:           8
        .value_kind:     hidden_global_offset_z
      - .offset:         112
        .size:           2
        .value_kind:     hidden_grid_dims
    .group_segment_fixed_size: 0
    .kernarg_segment_align: 8
    .kernarg_segment_size: 304
    .language:       OpenCL C
    .language_version:
      - 2
      - 0
    .max_flat_workgroup_size: 1024
    .name:           _ZN9rocsparseL20extract_count_kernelILj1024EilEEvT1_PKT0_PKS1_21rocsparse_index_base_b20rocsparse_diag_type_PS2_
    .private_segment_fixed_size: 0
    .sgpr_count:     22
    .sgpr_spill_count: 0
    .symbol:         _ZN9rocsparseL20extract_count_kernelILj1024EilEEvT1_PKT0_PKS1_21rocsparse_index_base_b20rocsparse_diag_type_PS2_.kd
    .uniform_work_group_size: 1
    .uses_dynamic_stack: false
    .vgpr_count:     11
    .vgpr_spill_count: 0
    .wavefront_size: 64
  - .args:
      - .offset:         0
        .size:           8
        .value_kind:     by_value
      - .actual_access:  read_only
        .address_space:  global
        .offset:         8
        .size:           8
        .value_kind:     global_buffer
      - .offset:         16
        .size:           4
        .value_kind:     by_value
      - .actual_access:  write_only
        .address_space:  global
        .offset:         24
        .size:           8
        .value_kind:     global_buffer
    .group_segment_fixed_size: 0
    .kernarg_segment_align: 8
    .kernarg_segment_size: 32
    .language:       OpenCL C
    .language_version:
      - 2
      - 0
    .max_flat_workgroup_size: 1
    .name:           _ZN9rocsparseL23extract_grab_nnz_kernelIilEEvT0_PKT_21rocsparse_index_base_Pl
    .private_segment_fixed_size: 0
    .sgpr_count:     11
    .sgpr_spill_count: 0
    .symbol:         _ZN9rocsparseL23extract_grab_nnz_kernelIilEEvT0_PKT_21rocsparse_index_base_Pl.kd
    .uniform_work_group_size: 1
    .uses_dynamic_stack: false
    .vgpr_count:     3
    .vgpr_spill_count: 0
    .wavefront_size: 64
  - .args:
      - .offset:         0
        .size:           4
        .value_kind:     by_value
      - .actual_access:  read_only
        .address_space:  global
        .offset:         8
        .size:           8
        .value_kind:     global_buffer
      - .actual_access:  read_only
        .address_space:  global
        .offset:         16
        .size:           8
        .value_kind:     global_buffer
      - .offset:         24
        .size:           4
        .value_kind:     by_value
      - .offset:         28
        .size:           1
        .value_kind:     by_value
      - .offset:         32
        .size:           4
        .value_kind:     by_value
      - .actual_access:  write_only
        .address_space:  global
        .offset:         40
        .size:           8
        .value_kind:     global_buffer
      - .offset:         48
        .size:           4
        .value_kind:     hidden_block_count_x
      - .offset:         52
        .size:           4
        .value_kind:     hidden_block_count_y
      - .offset:         56
        .size:           4
        .value_kind:     hidden_block_count_z
      - .offset:         60
        .size:           2
        .value_kind:     hidden_group_size_x
      - .offset:         62
        .size:           2
        .value_kind:     hidden_group_size_y
      - .offset:         64
        .size:           2
        .value_kind:     hidden_group_size_z
      - .offset:         66
        .size:           2
        .value_kind:     hidden_remainder_x
      - .offset:         68
        .size:           2
        .value_kind:     hidden_remainder_y
      - .offset:         70
        .size:           2
        .value_kind:     hidden_remainder_z
      - .offset:         88
        .size:           8
        .value_kind:     hidden_global_offset_x
      - .offset:         96
        .size:           8
        .value_kind:     hidden_global_offset_y
      - .offset:         104
        .size:           8
        .value_kind:     hidden_global_offset_z
      - .offset:         112
        .size:           2
        .value_kind:     hidden_grid_dims
    .group_segment_fixed_size: 0
    .kernarg_segment_align: 8
    .kernarg_segment_size: 304
    .language:       OpenCL C
    .language_version:
      - 2
      - 0
    .max_flat_workgroup_size: 1024
    .name:           _ZN9rocsparseL20extract_count_kernelILj1024EliEEvT1_PKT0_PKS1_21rocsparse_index_base_b20rocsparse_diag_type_PS2_
    .private_segment_fixed_size: 0
    .sgpr_count:     20
    .sgpr_spill_count: 0
    .symbol:         _ZN9rocsparseL20extract_count_kernelILj1024EliEEvT1_PKT0_PKS1_21rocsparse_index_base_b20rocsparse_diag_type_PS2_.kd
    .uniform_work_group_size: 1
    .uses_dynamic_stack: false
    .vgpr_count:     12
    .vgpr_spill_count: 0
    .wavefront_size: 64
  - .args:
      - .offset:         0
        .size:           4
        .value_kind:     by_value
      - .actual_access:  read_only
        .address_space:  global
        .offset:         8
        .size:           8
        .value_kind:     global_buffer
      - .offset:         16
        .size:           4
        .value_kind:     by_value
      - .actual_access:  write_only
        .address_space:  global
        .offset:         24
        .size:           8
        .value_kind:     global_buffer
    .group_segment_fixed_size: 0
    .kernarg_segment_align: 8
    .kernarg_segment_size: 32
    .language:       OpenCL C
    .language_version:
      - 2
      - 0
    .max_flat_workgroup_size: 1
    .name:           _ZN9rocsparseL23extract_grab_nnz_kernelIliEEvT0_PKT_21rocsparse_index_base_Pl
    .private_segment_fixed_size: 0
    .sgpr_count:     13
    .sgpr_spill_count: 0
    .symbol:         _ZN9rocsparseL23extract_grab_nnz_kernelIliEEvT0_PKT_21rocsparse_index_base_Pl.kd
    .uniform_work_group_size: 1
    .uses_dynamic_stack: false
    .vgpr_count:     3
    .vgpr_spill_count: 0
    .wavefront_size: 64
  - .args:
      - .offset:         0
        .size:           8
        .value_kind:     by_value
      - .actual_access:  read_only
        .address_space:  global
        .offset:         8
        .size:           8
        .value_kind:     global_buffer
      - .actual_access:  read_only
        .address_space:  global
        .offset:         16
        .size:           8
        .value_kind:     global_buffer
      - .offset:         24
        .size:           4
        .value_kind:     by_value
      - .offset:         28
        .size:           1
        .value_kind:     by_value
      - .offset:         32
        .size:           4
        .value_kind:     by_value
      - .actual_access:  write_only
        .address_space:  global
        .offset:         40
        .size:           8
        .value_kind:     global_buffer
      - .offset:         48
        .size:           4
        .value_kind:     hidden_block_count_x
      - .offset:         52
        .size:           4
        .value_kind:     hidden_block_count_y
      - .offset:         56
        .size:           4
        .value_kind:     hidden_block_count_z
      - .offset:         60
        .size:           2
        .value_kind:     hidden_group_size_x
      - .offset:         62
        .size:           2
        .value_kind:     hidden_group_size_y
      - .offset:         64
        .size:           2
        .value_kind:     hidden_group_size_z
      - .offset:         66
        .size:           2
        .value_kind:     hidden_remainder_x
      - .offset:         68
        .size:           2
        .value_kind:     hidden_remainder_y
      - .offset:         70
        .size:           2
        .value_kind:     hidden_remainder_z
      - .offset:         88
        .size:           8
        .value_kind:     hidden_global_offset_x
      - .offset:         96
        .size:           8
        .value_kind:     hidden_global_offset_y
      - .offset:         104
        .size:           8
        .value_kind:     hidden_global_offset_z
      - .offset:         112
        .size:           2
        .value_kind:     hidden_grid_dims
    .group_segment_fixed_size: 0
    .kernarg_segment_align: 8
    .kernarg_segment_size: 304
    .language:       OpenCL C
    .language_version:
      - 2
      - 0
    .max_flat_workgroup_size: 1024
    .name:           _ZN9rocsparseL20extract_count_kernelILj1024EllEEvT1_PKT0_PKS1_21rocsparse_index_base_b20rocsparse_diag_type_PS2_
    .private_segment_fixed_size: 0
    .sgpr_count:     22
    .sgpr_spill_count: 0
    .symbol:         _ZN9rocsparseL20extract_count_kernelILj1024EllEEvT1_PKT0_PKS1_21rocsparse_index_base_b20rocsparse_diag_type_PS2_.kd
    .uniform_work_group_size: 1
    .uses_dynamic_stack: false
    .vgpr_count:     14
    .vgpr_spill_count: 0
    .wavefront_size: 64
  - .args:
      - .offset:         0
        .size:           8
        .value_kind:     by_value
      - .actual_access:  read_only
        .address_space:  global
        .offset:         8
        .size:           8
        .value_kind:     global_buffer
      - .offset:         16
        .size:           4
        .value_kind:     by_value
      - .actual_access:  write_only
        .address_space:  global
        .offset:         24
        .size:           8
        .value_kind:     global_buffer
    .group_segment_fixed_size: 0
    .kernarg_segment_align: 8
    .kernarg_segment_size: 32
    .language:       OpenCL C
    .language_version:
      - 2
      - 0
    .max_flat_workgroup_size: 1
    .name:           _ZN9rocsparseL23extract_grab_nnz_kernelIllEEvT0_PKT_21rocsparse_index_base_Pl
    .private_segment_fixed_size: 0
    .sgpr_count:     13
    .sgpr_spill_count: 0
    .symbol:         _ZN9rocsparseL23extract_grab_nnz_kernelIllEEvT0_PKT_21rocsparse_index_base_Pl.kd
    .uniform_work_group_size: 1
    .uses_dynamic_stack: false
    .vgpr_count:     3
    .vgpr_spill_count: 0
    .wavefront_size: 64
  - .args:
      - .offset:         0
        .size:           4
        .value_kind:     by_value
      - .actual_access:  read_only
        .address_space:  global
        .offset:         8
        .size:           8
        .value_kind:     global_buffer
      - .actual_access:  read_only
        .address_space:  global
        .offset:         16
        .size:           8
        .value_kind:     global_buffer
      - .actual_access:  read_only
        .address_space:  global
        .offset:         24
        .size:           8
        .value_kind:     global_buffer
      - .offset:         32
        .size:           4
        .value_kind:     by_value
      - .offset:         36
        .size:           1
        .value_kind:     by_value
      - .offset:         40
        .size:           4
        .value_kind:     by_value
      - .actual_access:  read_only
        .address_space:  global
        .offset:         48
        .size:           8
        .value_kind:     global_buffer
      - .actual_access:  write_only
        .address_space:  global
        .offset:         56
        .size:           8
        .value_kind:     global_buffer
      - .actual_access:  write_only
        .address_space:  global
        .offset:         64
        .size:           8
        .value_kind:     global_buffer
      - .offset:         72
        .size:           4
        .value_kind:     by_value
      - .offset:         80
        .size:           4
        .value_kind:     hidden_block_count_x
      - .offset:         84
        .size:           4
        .value_kind:     hidden_block_count_y
      - .offset:         88
        .size:           4
        .value_kind:     hidden_block_count_z
      - .offset:         92
        .size:           2
        .value_kind:     hidden_group_size_x
      - .offset:         94
        .size:           2
        .value_kind:     hidden_group_size_y
      - .offset:         96
        .size:           2
        .value_kind:     hidden_group_size_z
      - .offset:         98
        .size:           2
        .value_kind:     hidden_remainder_x
      - .offset:         100
        .size:           2
        .value_kind:     hidden_remainder_y
      - .offset:         102
        .size:           2
        .value_kind:     hidden_remainder_z
      - .offset:         120
        .size:           8
        .value_kind:     hidden_global_offset_x
      - .offset:         128
        .size:           8
        .value_kind:     hidden_global_offset_y
      - .offset:         136
        .size:           8
        .value_kind:     hidden_global_offset_z
      - .offset:         144
        .size:           2
        .value_kind:     hidden_grid_dims
    .group_segment_fixed_size: 0
    .kernarg_segment_align: 8
    .kernarg_segment_size: 336
    .language:       OpenCL C
    .language_version:
      - 2
      - 0
    .max_flat_workgroup_size: 1024
    .name:           _ZN9rocsparseL28internal_extract_fill_kernelILj1024EDF16_iiEEvT2_PKT1_PKS1_PKT0_21rocsparse_index_base_b20rocsparse_diag_type_S4_PS1_PS7_SA_
    .private_segment_fixed_size: 0
    .sgpr_count:     21
    .sgpr_spill_count: 0
    .symbol:         _ZN9rocsparseL28internal_extract_fill_kernelILj1024EDF16_iiEEvT2_PKT1_PKS1_PKT0_21rocsparse_index_base_b20rocsparse_diag_type_S4_PS1_PS7_SA_.kd
    .uniform_work_group_size: 1
    .uses_dynamic_stack: false
    .vgpr_count:     16
    .vgpr_spill_count: 0
    .wavefront_size: 64
  - .args:
      - .offset:         0
        .size:           8
        .value_kind:     by_value
      - .actual_access:  read_only
        .address_space:  global
        .offset:         8
        .size:           8
        .value_kind:     global_buffer
      - .actual_access:  read_only
        .address_space:  global
        .offset:         16
        .size:           8
        .value_kind:     global_buffer
      - .actual_access:  read_only
        .address_space:  global
        .offset:         24
        .size:           8
        .value_kind:     global_buffer
      - .offset:         32
        .size:           4
        .value_kind:     by_value
      - .offset:         36
        .size:           1
        .value_kind:     by_value
      - .offset:         40
        .size:           4
        .value_kind:     by_value
      - .actual_access:  read_only
        .address_space:  global
        .offset:         48
        .size:           8
        .value_kind:     global_buffer
      - .actual_access:  write_only
        .address_space:  global
        .offset:         56
        .size:           8
        .value_kind:     global_buffer
      - .actual_access:  write_only
        .address_space:  global
        .offset:         64
        .size:           8
        .value_kind:     global_buffer
      - .offset:         72
        .size:           4
        .value_kind:     by_value
      - .offset:         80
        .size:           4
        .value_kind:     hidden_block_count_x
      - .offset:         84
        .size:           4
        .value_kind:     hidden_block_count_y
      - .offset:         88
        .size:           4
        .value_kind:     hidden_block_count_z
      - .offset:         92
        .size:           2
        .value_kind:     hidden_group_size_x
      - .offset:         94
        .size:           2
        .value_kind:     hidden_group_size_y
      - .offset:         96
        .size:           2
        .value_kind:     hidden_group_size_z
      - .offset:         98
        .size:           2
        .value_kind:     hidden_remainder_x
      - .offset:         100
        .size:           2
        .value_kind:     hidden_remainder_y
      - .offset:         102
        .size:           2
        .value_kind:     hidden_remainder_z
      - .offset:         120
        .size:           8
        .value_kind:     hidden_global_offset_x
      - .offset:         128
        .size:           8
        .value_kind:     hidden_global_offset_y
      - .offset:         136
        .size:           8
        .value_kind:     hidden_global_offset_z
      - .offset:         144
        .size:           2
        .value_kind:     hidden_grid_dims
    .group_segment_fixed_size: 0
    .kernarg_segment_align: 8
    .kernarg_segment_size: 336
    .language:       OpenCL C
    .language_version:
      - 2
      - 0
    .max_flat_workgroup_size: 1024
    .name:           _ZN9rocsparseL28internal_extract_fill_kernelILj1024EDF16_ilEEvT2_PKT1_PKS1_PKT0_21rocsparse_index_base_b20rocsparse_diag_type_S4_PS1_PS7_SA_
    .private_segment_fixed_size: 0
    .sgpr_count:     23
    .sgpr_spill_count: 0
    .symbol:         _ZN9rocsparseL28internal_extract_fill_kernelILj1024EDF16_ilEEvT2_PKT1_PKS1_PKT0_21rocsparse_index_base_b20rocsparse_diag_type_S4_PS1_PS7_SA_.kd
    .uniform_work_group_size: 1
    .uses_dynamic_stack: false
    .vgpr_count:     18
    .vgpr_spill_count: 0
    .wavefront_size: 64
  - .args:
      - .offset:         0
        .size:           4
        .value_kind:     by_value
      - .actual_access:  read_only
        .address_space:  global
        .offset:         8
        .size:           8
        .value_kind:     global_buffer
      - .actual_access:  read_only
        .address_space:  global
        .offset:         16
        .size:           8
        .value_kind:     global_buffer
      - .actual_access:  read_only
        .address_space:  global
        .offset:         24
        .size:           8
        .value_kind:     global_buffer
      - .offset:         32
        .size:           4
        .value_kind:     by_value
      - .offset:         36
        .size:           1
        .value_kind:     by_value
      - .offset:         40
        .size:           4
        .value_kind:     by_value
      - .actual_access:  read_only
        .address_space:  global
        .offset:         48
        .size:           8
        .value_kind:     global_buffer
      - .actual_access:  write_only
        .address_space:  global
        .offset:         56
        .size:           8
        .value_kind:     global_buffer
      - .actual_access:  write_only
        .address_space:  global
        .offset:         64
        .size:           8
        .value_kind:     global_buffer
      - .offset:         72
        .size:           4
        .value_kind:     by_value
      - .offset:         80
        .size:           4
        .value_kind:     hidden_block_count_x
      - .offset:         84
        .size:           4
        .value_kind:     hidden_block_count_y
      - .offset:         88
        .size:           4
        .value_kind:     hidden_block_count_z
      - .offset:         92
        .size:           2
        .value_kind:     hidden_group_size_x
      - .offset:         94
        .size:           2
        .value_kind:     hidden_group_size_y
      - .offset:         96
        .size:           2
        .value_kind:     hidden_group_size_z
      - .offset:         98
        .size:           2
        .value_kind:     hidden_remainder_x
      - .offset:         100
        .size:           2
        .value_kind:     hidden_remainder_y
      - .offset:         102
        .size:           2
        .value_kind:     hidden_remainder_z
      - .offset:         120
        .size:           8
        .value_kind:     hidden_global_offset_x
      - .offset:         128
        .size:           8
        .value_kind:     hidden_global_offset_y
      - .offset:         136
        .size:           8
        .value_kind:     hidden_global_offset_z
      - .offset:         144
        .size:           2
        .value_kind:     hidden_grid_dims
    .group_segment_fixed_size: 0
    .kernarg_segment_align: 8
    .kernarg_segment_size: 336
    .language:       OpenCL C
    .language_version:
      - 2
      - 0
    .max_flat_workgroup_size: 1024
    .name:           _ZN9rocsparseL28internal_extract_fill_kernelILj1024EDF16_liEEvT2_PKT1_PKS1_PKT0_21rocsparse_index_base_b20rocsparse_diag_type_S4_PS1_PS7_SA_
    .private_segment_fixed_size: 0
    .sgpr_count:     24
    .sgpr_spill_count: 0
    .symbol:         _ZN9rocsparseL28internal_extract_fill_kernelILj1024EDF16_liEEvT2_PKT1_PKS1_PKT0_21rocsparse_index_base_b20rocsparse_diag_type_S4_PS1_PS7_SA_.kd
    .uniform_work_group_size: 1
    .uses_dynamic_stack: false
    .vgpr_count:     19
    .vgpr_spill_count: 0
    .wavefront_size: 64
  - .args:
      - .offset:         0
        .size:           8
        .value_kind:     by_value
      - .actual_access:  read_only
        .address_space:  global
        .offset:         8
        .size:           8
        .value_kind:     global_buffer
      - .actual_access:  read_only
        .address_space:  global
        .offset:         16
        .size:           8
        .value_kind:     global_buffer
      - .actual_access:  read_only
        .address_space:  global
        .offset:         24
        .size:           8
        .value_kind:     global_buffer
      - .offset:         32
        .size:           4
        .value_kind:     by_value
      - .offset:         36
        .size:           1
        .value_kind:     by_value
      - .offset:         40
        .size:           4
        .value_kind:     by_value
      - .actual_access:  read_only
        .address_space:  global
        .offset:         48
        .size:           8
        .value_kind:     global_buffer
      - .actual_access:  write_only
        .address_space:  global
        .offset:         56
        .size:           8
        .value_kind:     global_buffer
      - .actual_access:  write_only
        .address_space:  global
        .offset:         64
        .size:           8
        .value_kind:     global_buffer
      - .offset:         72
        .size:           4
        .value_kind:     by_value
      - .offset:         80
        .size:           4
        .value_kind:     hidden_block_count_x
      - .offset:         84
        .size:           4
        .value_kind:     hidden_block_count_y
      - .offset:         88
        .size:           4
        .value_kind:     hidden_block_count_z
      - .offset:         92
        .size:           2
        .value_kind:     hidden_group_size_x
      - .offset:         94
        .size:           2
        .value_kind:     hidden_group_size_y
      - .offset:         96
        .size:           2
        .value_kind:     hidden_group_size_z
      - .offset:         98
        .size:           2
        .value_kind:     hidden_remainder_x
      - .offset:         100
        .size:           2
        .value_kind:     hidden_remainder_y
      - .offset:         102
        .size:           2
        .value_kind:     hidden_remainder_z
      - .offset:         120
        .size:           8
        .value_kind:     hidden_global_offset_x
      - .offset:         128
        .size:           8
        .value_kind:     hidden_global_offset_y
      - .offset:         136
        .size:           8
        .value_kind:     hidden_global_offset_z
      - .offset:         144
        .size:           2
        .value_kind:     hidden_grid_dims
    .group_segment_fixed_size: 0
    .kernarg_segment_align: 8
    .kernarg_segment_size: 336
    .language:       OpenCL C
    .language_version:
      - 2
      - 0
    .max_flat_workgroup_size: 1024
    .name:           _ZN9rocsparseL28internal_extract_fill_kernelILj1024EDF16_llEEvT2_PKT1_PKS1_PKT0_21rocsparse_index_base_b20rocsparse_diag_type_S4_PS1_PS7_SA_
    .private_segment_fixed_size: 0
    .sgpr_count:     23
    .sgpr_spill_count: 0
    .symbol:         _ZN9rocsparseL28internal_extract_fill_kernelILj1024EDF16_llEEvT2_PKT1_PKS1_PKT0_21rocsparse_index_base_b20rocsparse_diag_type_S4_PS1_PS7_SA_.kd
    .uniform_work_group_size: 1
    .uses_dynamic_stack: false
    .vgpr_count:     21
    .vgpr_spill_count: 0
    .wavefront_size: 64
  - .args:
      - .offset:         0
        .size:           4
        .value_kind:     by_value
      - .actual_access:  read_only
        .address_space:  global
        .offset:         8
        .size:           8
        .value_kind:     global_buffer
      - .actual_access:  read_only
        .address_space:  global
        .offset:         16
        .size:           8
        .value_kind:     global_buffer
      - .actual_access:  read_only
        .address_space:  global
        .offset:         24
        .size:           8
        .value_kind:     global_buffer
      - .offset:         32
        .size:           4
        .value_kind:     by_value
      - .offset:         36
        .size:           1
        .value_kind:     by_value
      - .offset:         40
        .size:           4
        .value_kind:     by_value
      - .actual_access:  read_only
        .address_space:  global
        .offset:         48
        .size:           8
        .value_kind:     global_buffer
      - .actual_access:  write_only
        .address_space:  global
        .offset:         56
        .size:           8
        .value_kind:     global_buffer
      - .actual_access:  write_only
        .address_space:  global
        .offset:         64
        .size:           8
        .value_kind:     global_buffer
      - .offset:         72
        .size:           4
        .value_kind:     by_value
      - .offset:         80
        .size:           4
        .value_kind:     hidden_block_count_x
      - .offset:         84
        .size:           4
        .value_kind:     hidden_block_count_y
      - .offset:         88
        .size:           4
        .value_kind:     hidden_block_count_z
      - .offset:         92
        .size:           2
        .value_kind:     hidden_group_size_x
      - .offset:         94
        .size:           2
        .value_kind:     hidden_group_size_y
      - .offset:         96
        .size:           2
        .value_kind:     hidden_group_size_z
      - .offset:         98
        .size:           2
        .value_kind:     hidden_remainder_x
      - .offset:         100
        .size:           2
        .value_kind:     hidden_remainder_y
      - .offset:         102
        .size:           2
        .value_kind:     hidden_remainder_z
      - .offset:         120
        .size:           8
        .value_kind:     hidden_global_offset_x
      - .offset:         128
        .size:           8
        .value_kind:     hidden_global_offset_y
      - .offset:         136
        .size:           8
        .value_kind:     hidden_global_offset_z
      - .offset:         144
        .size:           2
        .value_kind:     hidden_grid_dims
    .group_segment_fixed_size: 0
    .kernarg_segment_align: 8
    .kernarg_segment_size: 336
    .language:       OpenCL C
    .language_version:
      - 2
      - 0
    .max_flat_workgroup_size: 1024
    .name:           _ZN9rocsparseL28internal_extract_fill_kernelILj1024E18rocsparse_bfloat16iiEEvT2_PKT1_PKS2_PKT0_21rocsparse_index_base_b20rocsparse_diag_type_S5_PS2_PS8_SB_
    .private_segment_fixed_size: 0
    .sgpr_count:     21
    .sgpr_spill_count: 0
    .symbol:         _ZN9rocsparseL28internal_extract_fill_kernelILj1024E18rocsparse_bfloat16iiEEvT2_PKT1_PKS2_PKT0_21rocsparse_index_base_b20rocsparse_diag_type_S5_PS2_PS8_SB_.kd
    .uniform_work_group_size: 1
    .uses_dynamic_stack: false
    .vgpr_count:     16
    .vgpr_spill_count: 0
    .wavefront_size: 64
  - .args:
      - .offset:         0
        .size:           8
        .value_kind:     by_value
      - .actual_access:  read_only
        .address_space:  global
        .offset:         8
        .size:           8
        .value_kind:     global_buffer
      - .actual_access:  read_only
        .address_space:  global
        .offset:         16
        .size:           8
        .value_kind:     global_buffer
      - .actual_access:  read_only
        .address_space:  global
        .offset:         24
        .size:           8
        .value_kind:     global_buffer
      - .offset:         32
        .size:           4
        .value_kind:     by_value
      - .offset:         36
        .size:           1
        .value_kind:     by_value
      - .offset:         40
        .size:           4
        .value_kind:     by_value
      - .actual_access:  read_only
        .address_space:  global
        .offset:         48
        .size:           8
        .value_kind:     global_buffer
      - .actual_access:  write_only
        .address_space:  global
        .offset:         56
        .size:           8
        .value_kind:     global_buffer
      - .actual_access:  write_only
        .address_space:  global
        .offset:         64
        .size:           8
        .value_kind:     global_buffer
      - .offset:         72
        .size:           4
        .value_kind:     by_value
      - .offset:         80
        .size:           4
        .value_kind:     hidden_block_count_x
      - .offset:         84
        .size:           4
        .value_kind:     hidden_block_count_y
      - .offset:         88
        .size:           4
        .value_kind:     hidden_block_count_z
      - .offset:         92
        .size:           2
        .value_kind:     hidden_group_size_x
      - .offset:         94
        .size:           2
        .value_kind:     hidden_group_size_y
      - .offset:         96
        .size:           2
        .value_kind:     hidden_group_size_z
      - .offset:         98
        .size:           2
        .value_kind:     hidden_remainder_x
      - .offset:         100
        .size:           2
        .value_kind:     hidden_remainder_y
      - .offset:         102
        .size:           2
        .value_kind:     hidden_remainder_z
      - .offset:         120
        .size:           8
        .value_kind:     hidden_global_offset_x
      - .offset:         128
        .size:           8
        .value_kind:     hidden_global_offset_y
      - .offset:         136
        .size:           8
        .value_kind:     hidden_global_offset_z
      - .offset:         144
        .size:           2
        .value_kind:     hidden_grid_dims
    .group_segment_fixed_size: 0
    .kernarg_segment_align: 8
    .kernarg_segment_size: 336
    .language:       OpenCL C
    .language_version:
      - 2
      - 0
    .max_flat_workgroup_size: 1024
    .name:           _ZN9rocsparseL28internal_extract_fill_kernelILj1024E18rocsparse_bfloat16ilEEvT2_PKT1_PKS2_PKT0_21rocsparse_index_base_b20rocsparse_diag_type_S5_PS2_PS8_SB_
    .private_segment_fixed_size: 0
    .sgpr_count:     23
    .sgpr_spill_count: 0
    .symbol:         _ZN9rocsparseL28internal_extract_fill_kernelILj1024E18rocsparse_bfloat16ilEEvT2_PKT1_PKS2_PKT0_21rocsparse_index_base_b20rocsparse_diag_type_S5_PS2_PS8_SB_.kd
    .uniform_work_group_size: 1
    .uses_dynamic_stack: false
    .vgpr_count:     18
    .vgpr_spill_count: 0
    .wavefront_size: 64
  - .args:
      - .offset:         0
        .size:           4
        .value_kind:     by_value
      - .actual_access:  read_only
        .address_space:  global
        .offset:         8
        .size:           8
        .value_kind:     global_buffer
      - .actual_access:  read_only
        .address_space:  global
        .offset:         16
        .size:           8
        .value_kind:     global_buffer
      - .actual_access:  read_only
        .address_space:  global
        .offset:         24
        .size:           8
        .value_kind:     global_buffer
      - .offset:         32
        .size:           4
        .value_kind:     by_value
      - .offset:         36
        .size:           1
        .value_kind:     by_value
      - .offset:         40
        .size:           4
        .value_kind:     by_value
      - .actual_access:  read_only
        .address_space:  global
        .offset:         48
        .size:           8
        .value_kind:     global_buffer
      - .actual_access:  write_only
        .address_space:  global
        .offset:         56
        .size:           8
        .value_kind:     global_buffer
      - .actual_access:  write_only
        .address_space:  global
        .offset:         64
        .size:           8
        .value_kind:     global_buffer
      - .offset:         72
        .size:           4
        .value_kind:     by_value
      - .offset:         80
        .size:           4
        .value_kind:     hidden_block_count_x
      - .offset:         84
        .size:           4
        .value_kind:     hidden_block_count_y
      - .offset:         88
        .size:           4
        .value_kind:     hidden_block_count_z
      - .offset:         92
        .size:           2
        .value_kind:     hidden_group_size_x
      - .offset:         94
        .size:           2
        .value_kind:     hidden_group_size_y
      - .offset:         96
        .size:           2
        .value_kind:     hidden_group_size_z
      - .offset:         98
        .size:           2
        .value_kind:     hidden_remainder_x
      - .offset:         100
        .size:           2
        .value_kind:     hidden_remainder_y
      - .offset:         102
        .size:           2
        .value_kind:     hidden_remainder_z
      - .offset:         120
        .size:           8
        .value_kind:     hidden_global_offset_x
      - .offset:         128
        .size:           8
        .value_kind:     hidden_global_offset_y
      - .offset:         136
        .size:           8
        .value_kind:     hidden_global_offset_z
      - .offset:         144
        .size:           2
        .value_kind:     hidden_grid_dims
    .group_segment_fixed_size: 0
    .kernarg_segment_align: 8
    .kernarg_segment_size: 336
    .language:       OpenCL C
    .language_version:
      - 2
      - 0
    .max_flat_workgroup_size: 1024
    .name:           _ZN9rocsparseL28internal_extract_fill_kernelILj1024E18rocsparse_bfloat16liEEvT2_PKT1_PKS2_PKT0_21rocsparse_index_base_b20rocsparse_diag_type_S5_PS2_PS8_SB_
    .private_segment_fixed_size: 0
    .sgpr_count:     24
    .sgpr_spill_count: 0
    .symbol:         _ZN9rocsparseL28internal_extract_fill_kernelILj1024E18rocsparse_bfloat16liEEvT2_PKT1_PKS2_PKT0_21rocsparse_index_base_b20rocsparse_diag_type_S5_PS2_PS8_SB_.kd
    .uniform_work_group_size: 1
    .uses_dynamic_stack: false
    .vgpr_count:     19
    .vgpr_spill_count: 0
    .wavefront_size: 64
  - .args:
      - .offset:         0
        .size:           8
        .value_kind:     by_value
      - .actual_access:  read_only
        .address_space:  global
        .offset:         8
        .size:           8
        .value_kind:     global_buffer
      - .actual_access:  read_only
        .address_space:  global
        .offset:         16
        .size:           8
        .value_kind:     global_buffer
      - .actual_access:  read_only
        .address_space:  global
        .offset:         24
        .size:           8
        .value_kind:     global_buffer
      - .offset:         32
        .size:           4
        .value_kind:     by_value
      - .offset:         36
        .size:           1
        .value_kind:     by_value
      - .offset:         40
        .size:           4
        .value_kind:     by_value
      - .actual_access:  read_only
        .address_space:  global
        .offset:         48
        .size:           8
        .value_kind:     global_buffer
      - .actual_access:  write_only
        .address_space:  global
        .offset:         56
        .size:           8
        .value_kind:     global_buffer
      - .actual_access:  write_only
        .address_space:  global
        .offset:         64
        .size:           8
        .value_kind:     global_buffer
      - .offset:         72
        .size:           4
        .value_kind:     by_value
      - .offset:         80
        .size:           4
        .value_kind:     hidden_block_count_x
      - .offset:         84
        .size:           4
        .value_kind:     hidden_block_count_y
      - .offset:         88
        .size:           4
        .value_kind:     hidden_block_count_z
      - .offset:         92
        .size:           2
        .value_kind:     hidden_group_size_x
      - .offset:         94
        .size:           2
        .value_kind:     hidden_group_size_y
      - .offset:         96
        .size:           2
        .value_kind:     hidden_group_size_z
      - .offset:         98
        .size:           2
        .value_kind:     hidden_remainder_x
      - .offset:         100
        .size:           2
        .value_kind:     hidden_remainder_y
      - .offset:         102
        .size:           2
        .value_kind:     hidden_remainder_z
      - .offset:         120
        .size:           8
        .value_kind:     hidden_global_offset_x
      - .offset:         128
        .size:           8
        .value_kind:     hidden_global_offset_y
      - .offset:         136
        .size:           8
        .value_kind:     hidden_global_offset_z
      - .offset:         144
        .size:           2
        .value_kind:     hidden_grid_dims
    .group_segment_fixed_size: 0
    .kernarg_segment_align: 8
    .kernarg_segment_size: 336
    .language:       OpenCL C
    .language_version:
      - 2
      - 0
    .max_flat_workgroup_size: 1024
    .name:           _ZN9rocsparseL28internal_extract_fill_kernelILj1024E18rocsparse_bfloat16llEEvT2_PKT1_PKS2_PKT0_21rocsparse_index_base_b20rocsparse_diag_type_S5_PS2_PS8_SB_
    .private_segment_fixed_size: 0
    .sgpr_count:     23
    .sgpr_spill_count: 0
    .symbol:         _ZN9rocsparseL28internal_extract_fill_kernelILj1024E18rocsparse_bfloat16llEEvT2_PKT1_PKS2_PKT0_21rocsparse_index_base_b20rocsparse_diag_type_S5_PS2_PS8_SB_.kd
    .uniform_work_group_size: 1
    .uses_dynamic_stack: false
    .vgpr_count:     21
    .vgpr_spill_count: 0
    .wavefront_size: 64
  - .args:
      - .offset:         0
        .size:           4
        .value_kind:     by_value
      - .actual_access:  read_only
        .address_space:  global
        .offset:         8
        .size:           8
        .value_kind:     global_buffer
      - .actual_access:  read_only
        .address_space:  global
        .offset:         16
        .size:           8
        .value_kind:     global_buffer
      - .actual_access:  read_only
        .address_space:  global
        .offset:         24
        .size:           8
        .value_kind:     global_buffer
      - .offset:         32
        .size:           4
        .value_kind:     by_value
      - .offset:         36
        .size:           1
        .value_kind:     by_value
      - .offset:         40
        .size:           4
        .value_kind:     by_value
      - .actual_access:  read_only
        .address_space:  global
        .offset:         48
        .size:           8
        .value_kind:     global_buffer
      - .actual_access:  write_only
        .address_space:  global
        .offset:         56
        .size:           8
        .value_kind:     global_buffer
      - .actual_access:  write_only
        .address_space:  global
        .offset:         64
        .size:           8
        .value_kind:     global_buffer
      - .offset:         72
        .size:           4
        .value_kind:     by_value
      - .offset:         80
        .size:           4
        .value_kind:     hidden_block_count_x
      - .offset:         84
        .size:           4
        .value_kind:     hidden_block_count_y
      - .offset:         88
        .size:           4
        .value_kind:     hidden_block_count_z
      - .offset:         92
        .size:           2
        .value_kind:     hidden_group_size_x
      - .offset:         94
        .size:           2
        .value_kind:     hidden_group_size_y
      - .offset:         96
        .size:           2
        .value_kind:     hidden_group_size_z
      - .offset:         98
        .size:           2
        .value_kind:     hidden_remainder_x
      - .offset:         100
        .size:           2
        .value_kind:     hidden_remainder_y
      - .offset:         102
        .size:           2
        .value_kind:     hidden_remainder_z
      - .offset:         120
        .size:           8
        .value_kind:     hidden_global_offset_x
      - .offset:         128
        .size:           8
        .value_kind:     hidden_global_offset_y
      - .offset:         136
        .size:           8
        .value_kind:     hidden_global_offset_z
      - .offset:         144
        .size:           2
        .value_kind:     hidden_grid_dims
    .group_segment_fixed_size: 0
    .kernarg_segment_align: 8
    .kernarg_segment_size: 336
    .language:       OpenCL C
    .language_version:
      - 2
      - 0
    .max_flat_workgroup_size: 1024
    .name:           _ZN9rocsparseL28internal_extract_fill_kernelILj1024EfiiEEvT2_PKT1_PKS1_PKT0_21rocsparse_index_base_b20rocsparse_diag_type_S4_PS1_PS7_SA_
    .private_segment_fixed_size: 0
    .sgpr_count:     21
    .sgpr_spill_count: 0
    .symbol:         _ZN9rocsparseL28internal_extract_fill_kernelILj1024EfiiEEvT2_PKT1_PKS1_PKT0_21rocsparse_index_base_b20rocsparse_diag_type_S4_PS1_PS7_SA_.kd
    .uniform_work_group_size: 1
    .uses_dynamic_stack: false
    .vgpr_count:     15
    .vgpr_spill_count: 0
    .wavefront_size: 64
  - .args:
      - .offset:         0
        .size:           8
        .value_kind:     by_value
      - .actual_access:  read_only
        .address_space:  global
        .offset:         8
        .size:           8
        .value_kind:     global_buffer
      - .actual_access:  read_only
        .address_space:  global
        .offset:         16
        .size:           8
        .value_kind:     global_buffer
      - .actual_access:  read_only
        .address_space:  global
        .offset:         24
        .size:           8
        .value_kind:     global_buffer
      - .offset:         32
        .size:           4
        .value_kind:     by_value
      - .offset:         36
        .size:           1
        .value_kind:     by_value
      - .offset:         40
        .size:           4
        .value_kind:     by_value
      - .actual_access:  read_only
        .address_space:  global
        .offset:         48
        .size:           8
        .value_kind:     global_buffer
      - .actual_access:  write_only
        .address_space:  global
        .offset:         56
        .size:           8
        .value_kind:     global_buffer
      - .actual_access:  write_only
        .address_space:  global
        .offset:         64
        .size:           8
        .value_kind:     global_buffer
      - .offset:         72
        .size:           4
        .value_kind:     by_value
      - .offset:         80
        .size:           4
        .value_kind:     hidden_block_count_x
      - .offset:         84
        .size:           4
        .value_kind:     hidden_block_count_y
      - .offset:         88
        .size:           4
        .value_kind:     hidden_block_count_z
      - .offset:         92
        .size:           2
        .value_kind:     hidden_group_size_x
      - .offset:         94
        .size:           2
        .value_kind:     hidden_group_size_y
      - .offset:         96
        .size:           2
        .value_kind:     hidden_group_size_z
      - .offset:         98
        .size:           2
        .value_kind:     hidden_remainder_x
      - .offset:         100
        .size:           2
        .value_kind:     hidden_remainder_y
      - .offset:         102
        .size:           2
        .value_kind:     hidden_remainder_z
      - .offset:         120
        .size:           8
        .value_kind:     hidden_global_offset_x
      - .offset:         128
        .size:           8
        .value_kind:     hidden_global_offset_y
      - .offset:         136
        .size:           8
        .value_kind:     hidden_global_offset_z
      - .offset:         144
        .size:           2
        .value_kind:     hidden_grid_dims
    .group_segment_fixed_size: 0
    .kernarg_segment_align: 8
    .kernarg_segment_size: 336
    .language:       OpenCL C
    .language_version:
      - 2
      - 0
    .max_flat_workgroup_size: 1024
    .name:           _ZN9rocsparseL28internal_extract_fill_kernelILj1024EfilEEvT2_PKT1_PKS1_PKT0_21rocsparse_index_base_b20rocsparse_diag_type_S4_PS1_PS7_SA_
    .private_segment_fixed_size: 0
    .sgpr_count:     23
    .sgpr_spill_count: 0
    .symbol:         _ZN9rocsparseL28internal_extract_fill_kernelILj1024EfilEEvT2_PKT1_PKS1_PKT0_21rocsparse_index_base_b20rocsparse_diag_type_S4_PS1_PS7_SA_.kd
    .uniform_work_group_size: 1
    .uses_dynamic_stack: false
    .vgpr_count:     18
    .vgpr_spill_count: 0
    .wavefront_size: 64
  - .args:
      - .offset:         0
        .size:           4
        .value_kind:     by_value
      - .actual_access:  read_only
        .address_space:  global
        .offset:         8
        .size:           8
        .value_kind:     global_buffer
      - .actual_access:  read_only
        .address_space:  global
        .offset:         16
        .size:           8
        .value_kind:     global_buffer
      - .actual_access:  read_only
        .address_space:  global
        .offset:         24
        .size:           8
        .value_kind:     global_buffer
      - .offset:         32
        .size:           4
        .value_kind:     by_value
      - .offset:         36
        .size:           1
        .value_kind:     by_value
      - .offset:         40
        .size:           4
        .value_kind:     by_value
      - .actual_access:  read_only
        .address_space:  global
        .offset:         48
        .size:           8
        .value_kind:     global_buffer
      - .actual_access:  write_only
        .address_space:  global
        .offset:         56
        .size:           8
        .value_kind:     global_buffer
      - .actual_access:  write_only
        .address_space:  global
        .offset:         64
        .size:           8
        .value_kind:     global_buffer
      - .offset:         72
        .size:           4
        .value_kind:     by_value
      - .offset:         80
        .size:           4
        .value_kind:     hidden_block_count_x
      - .offset:         84
        .size:           4
        .value_kind:     hidden_block_count_y
      - .offset:         88
        .size:           4
        .value_kind:     hidden_block_count_z
      - .offset:         92
        .size:           2
        .value_kind:     hidden_group_size_x
      - .offset:         94
        .size:           2
        .value_kind:     hidden_group_size_y
      - .offset:         96
        .size:           2
        .value_kind:     hidden_group_size_z
      - .offset:         98
        .size:           2
        .value_kind:     hidden_remainder_x
      - .offset:         100
        .size:           2
        .value_kind:     hidden_remainder_y
      - .offset:         102
        .size:           2
        .value_kind:     hidden_remainder_z
      - .offset:         120
        .size:           8
        .value_kind:     hidden_global_offset_x
      - .offset:         128
        .size:           8
        .value_kind:     hidden_global_offset_y
      - .offset:         136
        .size:           8
        .value_kind:     hidden_global_offset_z
      - .offset:         144
        .size:           2
        .value_kind:     hidden_grid_dims
    .group_segment_fixed_size: 0
    .kernarg_segment_align: 8
    .kernarg_segment_size: 336
    .language:       OpenCL C
    .language_version:
      - 2
      - 0
    .max_flat_workgroup_size: 1024
    .name:           _ZN9rocsparseL28internal_extract_fill_kernelILj1024EfliEEvT2_PKT1_PKS1_PKT0_21rocsparse_index_base_b20rocsparse_diag_type_S4_PS1_PS7_SA_
    .private_segment_fixed_size: 0
    .sgpr_count:     21
    .sgpr_spill_count: 0
    .symbol:         _ZN9rocsparseL28internal_extract_fill_kernelILj1024EfliEEvT2_PKT1_PKS1_PKT0_21rocsparse_index_base_b20rocsparse_diag_type_S4_PS1_PS7_SA_.kd
    .uniform_work_group_size: 1
    .uses_dynamic_stack: false
    .vgpr_count:     18
    .vgpr_spill_count: 0
    .wavefront_size: 64
  - .args:
      - .offset:         0
        .size:           8
        .value_kind:     by_value
      - .actual_access:  read_only
        .address_space:  global
        .offset:         8
        .size:           8
        .value_kind:     global_buffer
      - .actual_access:  read_only
        .address_space:  global
        .offset:         16
        .size:           8
        .value_kind:     global_buffer
      - .actual_access:  read_only
        .address_space:  global
        .offset:         24
        .size:           8
        .value_kind:     global_buffer
      - .offset:         32
        .size:           4
        .value_kind:     by_value
      - .offset:         36
        .size:           1
        .value_kind:     by_value
      - .offset:         40
        .size:           4
        .value_kind:     by_value
      - .actual_access:  read_only
        .address_space:  global
        .offset:         48
        .size:           8
        .value_kind:     global_buffer
      - .actual_access:  write_only
        .address_space:  global
        .offset:         56
        .size:           8
        .value_kind:     global_buffer
      - .actual_access:  write_only
        .address_space:  global
        .offset:         64
        .size:           8
        .value_kind:     global_buffer
      - .offset:         72
        .size:           4
        .value_kind:     by_value
      - .offset:         80
        .size:           4
        .value_kind:     hidden_block_count_x
      - .offset:         84
        .size:           4
        .value_kind:     hidden_block_count_y
      - .offset:         88
        .size:           4
        .value_kind:     hidden_block_count_z
      - .offset:         92
        .size:           2
        .value_kind:     hidden_group_size_x
      - .offset:         94
        .size:           2
        .value_kind:     hidden_group_size_y
      - .offset:         96
        .size:           2
        .value_kind:     hidden_group_size_z
      - .offset:         98
        .size:           2
        .value_kind:     hidden_remainder_x
      - .offset:         100
        .size:           2
        .value_kind:     hidden_remainder_y
      - .offset:         102
        .size:           2
        .value_kind:     hidden_remainder_z
      - .offset:         120
        .size:           8
        .value_kind:     hidden_global_offset_x
      - .offset:         128
        .size:           8
        .value_kind:     hidden_global_offset_y
      - .offset:         136
        .size:           8
        .value_kind:     hidden_global_offset_z
      - .offset:         144
        .size:           2
        .value_kind:     hidden_grid_dims
    .group_segment_fixed_size: 0
    .kernarg_segment_align: 8
    .kernarg_segment_size: 336
    .language:       OpenCL C
    .language_version:
      - 2
      - 0
    .max_flat_workgroup_size: 1024
    .name:           _ZN9rocsparseL28internal_extract_fill_kernelILj1024EfllEEvT2_PKT1_PKS1_PKT0_21rocsparse_index_base_b20rocsparse_diag_type_S4_PS1_PS7_SA_
    .private_segment_fixed_size: 0
    .sgpr_count:     23
    .sgpr_spill_count: 0
    .symbol:         _ZN9rocsparseL28internal_extract_fill_kernelILj1024EfllEEvT2_PKT1_PKS1_PKT0_21rocsparse_index_base_b20rocsparse_diag_type_S4_PS1_PS7_SA_.kd
    .uniform_work_group_size: 1
    .uses_dynamic_stack: false
    .vgpr_count:     21
    .vgpr_spill_count: 0
    .wavefront_size: 64
  - .args:
      - .offset:         0
        .size:           4
        .value_kind:     by_value
      - .actual_access:  read_only
        .address_space:  global
        .offset:         8
        .size:           8
        .value_kind:     global_buffer
      - .actual_access:  read_only
        .address_space:  global
        .offset:         16
        .size:           8
        .value_kind:     global_buffer
      - .actual_access:  read_only
        .address_space:  global
        .offset:         24
        .size:           8
        .value_kind:     global_buffer
      - .offset:         32
        .size:           4
        .value_kind:     by_value
      - .offset:         36
        .size:           1
        .value_kind:     by_value
      - .offset:         40
        .size:           4
        .value_kind:     by_value
      - .actual_access:  read_only
        .address_space:  global
        .offset:         48
        .size:           8
        .value_kind:     global_buffer
      - .actual_access:  write_only
        .address_space:  global
        .offset:         56
        .size:           8
        .value_kind:     global_buffer
      - .actual_access:  write_only
        .address_space:  global
        .offset:         64
        .size:           8
        .value_kind:     global_buffer
      - .offset:         72
        .size:           4
        .value_kind:     by_value
      - .offset:         80
        .size:           4
        .value_kind:     hidden_block_count_x
      - .offset:         84
        .size:           4
        .value_kind:     hidden_block_count_y
      - .offset:         88
        .size:           4
        .value_kind:     hidden_block_count_z
      - .offset:         92
        .size:           2
        .value_kind:     hidden_group_size_x
      - .offset:         94
        .size:           2
        .value_kind:     hidden_group_size_y
      - .offset:         96
        .size:           2
        .value_kind:     hidden_group_size_z
      - .offset:         98
        .size:           2
        .value_kind:     hidden_remainder_x
      - .offset:         100
        .size:           2
        .value_kind:     hidden_remainder_y
      - .offset:         102
        .size:           2
        .value_kind:     hidden_remainder_z
      - .offset:         120
        .size:           8
        .value_kind:     hidden_global_offset_x
      - .offset:         128
        .size:           8
        .value_kind:     hidden_global_offset_y
      - .offset:         136
        .size:           8
        .value_kind:     hidden_global_offset_z
      - .offset:         144
        .size:           2
        .value_kind:     hidden_grid_dims
    .group_segment_fixed_size: 0
    .kernarg_segment_align: 8
    .kernarg_segment_size: 336
    .language:       OpenCL C
    .language_version:
      - 2
      - 0
    .max_flat_workgroup_size: 1024
    .name:           _ZN9rocsparseL28internal_extract_fill_kernelILj1024EdiiEEvT2_PKT1_PKS1_PKT0_21rocsparse_index_base_b20rocsparse_diag_type_S4_PS1_PS7_SA_
    .private_segment_fixed_size: 0
    .sgpr_count:     21
    .sgpr_spill_count: 0
    .symbol:         _ZN9rocsparseL28internal_extract_fill_kernelILj1024EdiiEEvT2_PKT1_PKS1_PKT0_21rocsparse_index_base_b20rocsparse_diag_type_S4_PS1_PS7_SA_.kd
    .uniform_work_group_size: 1
    .uses_dynamic_stack: false
    .vgpr_count:     17
    .vgpr_spill_count: 0
    .wavefront_size: 64
  - .args:
      - .offset:         0
        .size:           8
        .value_kind:     by_value
      - .actual_access:  read_only
        .address_space:  global
        .offset:         8
        .size:           8
        .value_kind:     global_buffer
      - .actual_access:  read_only
        .address_space:  global
        .offset:         16
        .size:           8
        .value_kind:     global_buffer
      - .actual_access:  read_only
        .address_space:  global
        .offset:         24
        .size:           8
        .value_kind:     global_buffer
      - .offset:         32
        .size:           4
        .value_kind:     by_value
      - .offset:         36
        .size:           1
        .value_kind:     by_value
      - .offset:         40
        .size:           4
        .value_kind:     by_value
      - .actual_access:  read_only
        .address_space:  global
        .offset:         48
        .size:           8
        .value_kind:     global_buffer
      - .actual_access:  write_only
        .address_space:  global
        .offset:         56
        .size:           8
        .value_kind:     global_buffer
      - .actual_access:  write_only
        .address_space:  global
        .offset:         64
        .size:           8
        .value_kind:     global_buffer
      - .offset:         72
        .size:           4
        .value_kind:     by_value
      - .offset:         80
        .size:           4
        .value_kind:     hidden_block_count_x
      - .offset:         84
        .size:           4
        .value_kind:     hidden_block_count_y
      - .offset:         88
        .size:           4
        .value_kind:     hidden_block_count_z
      - .offset:         92
        .size:           2
        .value_kind:     hidden_group_size_x
      - .offset:         94
        .size:           2
        .value_kind:     hidden_group_size_y
      - .offset:         96
        .size:           2
        .value_kind:     hidden_group_size_z
      - .offset:         98
        .size:           2
        .value_kind:     hidden_remainder_x
      - .offset:         100
        .size:           2
        .value_kind:     hidden_remainder_y
      - .offset:         102
        .size:           2
        .value_kind:     hidden_remainder_z
      - .offset:         120
        .size:           8
        .value_kind:     hidden_global_offset_x
      - .offset:         128
        .size:           8
        .value_kind:     hidden_global_offset_y
      - .offset:         136
        .size:           8
        .value_kind:     hidden_global_offset_z
      - .offset:         144
        .size:           2
        .value_kind:     hidden_grid_dims
    .group_segment_fixed_size: 0
    .kernarg_segment_align: 8
    .kernarg_segment_size: 336
    .language:       OpenCL C
    .language_version:
      - 2
      - 0
    .max_flat_workgroup_size: 1024
    .name:           _ZN9rocsparseL28internal_extract_fill_kernelILj1024EdilEEvT2_PKT1_PKS1_PKT0_21rocsparse_index_base_b20rocsparse_diag_type_S4_PS1_PS7_SA_
    .private_segment_fixed_size: 0
    .sgpr_count:     23
    .sgpr_spill_count: 0
    .symbol:         _ZN9rocsparseL28internal_extract_fill_kernelILj1024EdilEEvT2_PKT1_PKS1_PKT0_21rocsparse_index_base_b20rocsparse_diag_type_S4_PS1_PS7_SA_.kd
    .uniform_work_group_size: 1
    .uses_dynamic_stack: false
    .vgpr_count:     18
    .vgpr_spill_count: 0
    .wavefront_size: 64
  - .args:
      - .offset:         0
        .size:           4
        .value_kind:     by_value
      - .actual_access:  read_only
        .address_space:  global
        .offset:         8
        .size:           8
        .value_kind:     global_buffer
      - .actual_access:  read_only
        .address_space:  global
        .offset:         16
        .size:           8
        .value_kind:     global_buffer
      - .actual_access:  read_only
        .address_space:  global
        .offset:         24
        .size:           8
        .value_kind:     global_buffer
      - .offset:         32
        .size:           4
        .value_kind:     by_value
      - .offset:         36
        .size:           1
        .value_kind:     by_value
      - .offset:         40
        .size:           4
        .value_kind:     by_value
      - .actual_access:  read_only
        .address_space:  global
        .offset:         48
        .size:           8
        .value_kind:     global_buffer
      - .actual_access:  write_only
        .address_space:  global
        .offset:         56
        .size:           8
        .value_kind:     global_buffer
      - .actual_access:  write_only
        .address_space:  global
        .offset:         64
        .size:           8
        .value_kind:     global_buffer
      - .offset:         72
        .size:           4
        .value_kind:     by_value
      - .offset:         80
        .size:           4
        .value_kind:     hidden_block_count_x
      - .offset:         84
        .size:           4
        .value_kind:     hidden_block_count_y
      - .offset:         88
        .size:           4
        .value_kind:     hidden_block_count_z
      - .offset:         92
        .size:           2
        .value_kind:     hidden_group_size_x
      - .offset:         94
        .size:           2
        .value_kind:     hidden_group_size_y
      - .offset:         96
        .size:           2
        .value_kind:     hidden_group_size_z
      - .offset:         98
        .size:           2
        .value_kind:     hidden_remainder_x
      - .offset:         100
        .size:           2
        .value_kind:     hidden_remainder_y
      - .offset:         102
        .size:           2
        .value_kind:     hidden_remainder_z
      - .offset:         120
        .size:           8
        .value_kind:     hidden_global_offset_x
      - .offset:         128
        .size:           8
        .value_kind:     hidden_global_offset_y
      - .offset:         136
        .size:           8
        .value_kind:     hidden_global_offset_z
      - .offset:         144
        .size:           2
        .value_kind:     hidden_grid_dims
    .group_segment_fixed_size: 0
    .kernarg_segment_align: 8
    .kernarg_segment_size: 336
    .language:       OpenCL C
    .language_version:
      - 2
      - 0
    .max_flat_workgroup_size: 1024
    .name:           _ZN9rocsparseL28internal_extract_fill_kernelILj1024EdliEEvT2_PKT1_PKS1_PKT0_21rocsparse_index_base_b20rocsparse_diag_type_S4_PS1_PS7_SA_
    .private_segment_fixed_size: 0
    .sgpr_count:     24
    .sgpr_spill_count: 0
    .symbol:         _ZN9rocsparseL28internal_extract_fill_kernelILj1024EdliEEvT2_PKT1_PKS1_PKT0_21rocsparse_index_base_b20rocsparse_diag_type_S4_PS1_PS7_SA_.kd
    .uniform_work_group_size: 1
    .uses_dynamic_stack: false
    .vgpr_count:     20
    .vgpr_spill_count: 0
    .wavefront_size: 64
  - .args:
      - .offset:         0
        .size:           8
        .value_kind:     by_value
      - .actual_access:  read_only
        .address_space:  global
        .offset:         8
        .size:           8
        .value_kind:     global_buffer
      - .actual_access:  read_only
        .address_space:  global
        .offset:         16
        .size:           8
        .value_kind:     global_buffer
      - .actual_access:  read_only
        .address_space:  global
        .offset:         24
        .size:           8
        .value_kind:     global_buffer
      - .offset:         32
        .size:           4
        .value_kind:     by_value
      - .offset:         36
        .size:           1
        .value_kind:     by_value
      - .offset:         40
        .size:           4
        .value_kind:     by_value
      - .actual_access:  read_only
        .address_space:  global
        .offset:         48
        .size:           8
        .value_kind:     global_buffer
      - .actual_access:  write_only
        .address_space:  global
        .offset:         56
        .size:           8
        .value_kind:     global_buffer
      - .actual_access:  write_only
        .address_space:  global
        .offset:         64
        .size:           8
        .value_kind:     global_buffer
      - .offset:         72
        .size:           4
        .value_kind:     by_value
      - .offset:         80
        .size:           4
        .value_kind:     hidden_block_count_x
      - .offset:         84
        .size:           4
        .value_kind:     hidden_block_count_y
      - .offset:         88
        .size:           4
        .value_kind:     hidden_block_count_z
      - .offset:         92
        .size:           2
        .value_kind:     hidden_group_size_x
      - .offset:         94
        .size:           2
        .value_kind:     hidden_group_size_y
      - .offset:         96
        .size:           2
        .value_kind:     hidden_group_size_z
      - .offset:         98
        .size:           2
        .value_kind:     hidden_remainder_x
      - .offset:         100
        .size:           2
        .value_kind:     hidden_remainder_y
      - .offset:         102
        .size:           2
        .value_kind:     hidden_remainder_z
      - .offset:         120
        .size:           8
        .value_kind:     hidden_global_offset_x
      - .offset:         128
        .size:           8
        .value_kind:     hidden_global_offset_y
      - .offset:         136
        .size:           8
        .value_kind:     hidden_global_offset_z
      - .offset:         144
        .size:           2
        .value_kind:     hidden_grid_dims
    .group_segment_fixed_size: 0
    .kernarg_segment_align: 8
    .kernarg_segment_size: 336
    .language:       OpenCL C
    .language_version:
      - 2
      - 0
    .max_flat_workgroup_size: 1024
    .name:           _ZN9rocsparseL28internal_extract_fill_kernelILj1024EdllEEvT2_PKT1_PKS1_PKT0_21rocsparse_index_base_b20rocsparse_diag_type_S4_PS1_PS7_SA_
    .private_segment_fixed_size: 0
    .sgpr_count:     32
    .sgpr_spill_count: 0
    .symbol:         _ZN9rocsparseL28internal_extract_fill_kernelILj1024EdllEEvT2_PKT1_PKS1_PKT0_21rocsparse_index_base_b20rocsparse_diag_type_S4_PS1_PS7_SA_.kd
    .uniform_work_group_size: 1
    .uses_dynamic_stack: false
    .vgpr_count:     21
    .vgpr_spill_count: 0
    .wavefront_size: 64
  - .args:
      - .offset:         0
        .size:           4
        .value_kind:     by_value
      - .actual_access:  read_only
        .address_space:  global
        .offset:         8
        .size:           8
        .value_kind:     global_buffer
      - .actual_access:  read_only
        .address_space:  global
        .offset:         16
        .size:           8
        .value_kind:     global_buffer
      - .actual_access:  read_only
        .address_space:  global
        .offset:         24
        .size:           8
        .value_kind:     global_buffer
      - .offset:         32
        .size:           4
        .value_kind:     by_value
      - .offset:         36
        .size:           1
        .value_kind:     by_value
      - .offset:         40
        .size:           4
        .value_kind:     by_value
      - .actual_access:  read_only
        .address_space:  global
        .offset:         48
        .size:           8
        .value_kind:     global_buffer
      - .actual_access:  write_only
        .address_space:  global
        .offset:         56
        .size:           8
        .value_kind:     global_buffer
      - .actual_access:  write_only
        .address_space:  global
        .offset:         64
        .size:           8
        .value_kind:     global_buffer
      - .offset:         72
        .size:           4
        .value_kind:     by_value
      - .offset:         80
        .size:           4
        .value_kind:     hidden_block_count_x
      - .offset:         84
        .size:           4
        .value_kind:     hidden_block_count_y
      - .offset:         88
        .size:           4
        .value_kind:     hidden_block_count_z
      - .offset:         92
        .size:           2
        .value_kind:     hidden_group_size_x
      - .offset:         94
        .size:           2
        .value_kind:     hidden_group_size_y
      - .offset:         96
        .size:           2
        .value_kind:     hidden_group_size_z
      - .offset:         98
        .size:           2
        .value_kind:     hidden_remainder_x
      - .offset:         100
        .size:           2
        .value_kind:     hidden_remainder_y
      - .offset:         102
        .size:           2
        .value_kind:     hidden_remainder_z
      - .offset:         120
        .size:           8
        .value_kind:     hidden_global_offset_x
      - .offset:         128
        .size:           8
        .value_kind:     hidden_global_offset_y
      - .offset:         136
        .size:           8
        .value_kind:     hidden_global_offset_z
      - .offset:         144
        .size:           2
        .value_kind:     hidden_grid_dims
    .group_segment_fixed_size: 0
    .kernarg_segment_align: 8
    .kernarg_segment_size: 336
    .language:       OpenCL C
    .language_version:
      - 2
      - 0
    .max_flat_workgroup_size: 1024
    .name:           _ZN9rocsparseL28internal_extract_fill_kernelILj1024E21rocsparse_complex_numIfEiiEEvT2_PKT1_PKS3_PKT0_21rocsparse_index_base_b20rocsparse_diag_type_S6_PS3_PS9_SC_
    .private_segment_fixed_size: 0
    .sgpr_count:     21
    .sgpr_spill_count: 0
    .symbol:         _ZN9rocsparseL28internal_extract_fill_kernelILj1024E21rocsparse_complex_numIfEiiEEvT2_PKT1_PKS3_PKT0_21rocsparse_index_base_b20rocsparse_diag_type_S6_PS3_PS9_SC_.kd
    .uniform_work_group_size: 1
    .uses_dynamic_stack: false
    .vgpr_count:     17
    .vgpr_spill_count: 0
    .wavefront_size: 64
  - .args:
      - .offset:         0
        .size:           8
        .value_kind:     by_value
      - .actual_access:  read_only
        .address_space:  global
        .offset:         8
        .size:           8
        .value_kind:     global_buffer
      - .actual_access:  read_only
        .address_space:  global
        .offset:         16
        .size:           8
        .value_kind:     global_buffer
      - .actual_access:  read_only
        .address_space:  global
        .offset:         24
        .size:           8
        .value_kind:     global_buffer
      - .offset:         32
        .size:           4
        .value_kind:     by_value
      - .offset:         36
        .size:           1
        .value_kind:     by_value
      - .offset:         40
        .size:           4
        .value_kind:     by_value
      - .actual_access:  read_only
        .address_space:  global
        .offset:         48
        .size:           8
        .value_kind:     global_buffer
      - .actual_access:  write_only
        .address_space:  global
        .offset:         56
        .size:           8
        .value_kind:     global_buffer
      - .actual_access:  write_only
        .address_space:  global
        .offset:         64
        .size:           8
        .value_kind:     global_buffer
      - .offset:         72
        .size:           4
        .value_kind:     by_value
      - .offset:         80
        .size:           4
        .value_kind:     hidden_block_count_x
      - .offset:         84
        .size:           4
        .value_kind:     hidden_block_count_y
      - .offset:         88
        .size:           4
        .value_kind:     hidden_block_count_z
      - .offset:         92
        .size:           2
        .value_kind:     hidden_group_size_x
      - .offset:         94
        .size:           2
        .value_kind:     hidden_group_size_y
      - .offset:         96
        .size:           2
        .value_kind:     hidden_group_size_z
      - .offset:         98
        .size:           2
        .value_kind:     hidden_remainder_x
      - .offset:         100
        .size:           2
        .value_kind:     hidden_remainder_y
      - .offset:         102
        .size:           2
        .value_kind:     hidden_remainder_z
      - .offset:         120
        .size:           8
        .value_kind:     hidden_global_offset_x
      - .offset:         128
        .size:           8
        .value_kind:     hidden_global_offset_y
      - .offset:         136
        .size:           8
        .value_kind:     hidden_global_offset_z
      - .offset:         144
        .size:           2
        .value_kind:     hidden_grid_dims
    .group_segment_fixed_size: 0
    .kernarg_segment_align: 8
    .kernarg_segment_size: 336
    .language:       OpenCL C
    .language_version:
      - 2
      - 0
    .max_flat_workgroup_size: 1024
    .name:           _ZN9rocsparseL28internal_extract_fill_kernelILj1024E21rocsparse_complex_numIfEilEEvT2_PKT1_PKS3_PKT0_21rocsparse_index_base_b20rocsparse_diag_type_S6_PS3_PS9_SC_
    .private_segment_fixed_size: 0
    .sgpr_count:     23
    .sgpr_spill_count: 0
    .symbol:         _ZN9rocsparseL28internal_extract_fill_kernelILj1024E21rocsparse_complex_numIfEilEEvT2_PKT1_PKS3_PKT0_21rocsparse_index_base_b20rocsparse_diag_type_S6_PS3_PS9_SC_.kd
    .uniform_work_group_size: 1
    .uses_dynamic_stack: false
    .vgpr_count:     18
    .vgpr_spill_count: 0
    .wavefront_size: 64
  - .args:
      - .offset:         0
        .size:           4
        .value_kind:     by_value
      - .actual_access:  read_only
        .address_space:  global
        .offset:         8
        .size:           8
        .value_kind:     global_buffer
      - .actual_access:  read_only
        .address_space:  global
        .offset:         16
        .size:           8
        .value_kind:     global_buffer
      - .actual_access:  read_only
        .address_space:  global
        .offset:         24
        .size:           8
        .value_kind:     global_buffer
      - .offset:         32
        .size:           4
        .value_kind:     by_value
      - .offset:         36
        .size:           1
        .value_kind:     by_value
      - .offset:         40
        .size:           4
        .value_kind:     by_value
      - .actual_access:  read_only
        .address_space:  global
        .offset:         48
        .size:           8
        .value_kind:     global_buffer
      - .actual_access:  write_only
        .address_space:  global
        .offset:         56
        .size:           8
        .value_kind:     global_buffer
      - .actual_access:  write_only
        .address_space:  global
        .offset:         64
        .size:           8
        .value_kind:     global_buffer
      - .offset:         72
        .size:           4
        .value_kind:     by_value
      - .offset:         80
        .size:           4
        .value_kind:     hidden_block_count_x
      - .offset:         84
        .size:           4
        .value_kind:     hidden_block_count_y
      - .offset:         88
        .size:           4
        .value_kind:     hidden_block_count_z
      - .offset:         92
        .size:           2
        .value_kind:     hidden_group_size_x
      - .offset:         94
        .size:           2
        .value_kind:     hidden_group_size_y
      - .offset:         96
        .size:           2
        .value_kind:     hidden_group_size_z
      - .offset:         98
        .size:           2
        .value_kind:     hidden_remainder_x
      - .offset:         100
        .size:           2
        .value_kind:     hidden_remainder_y
      - .offset:         102
        .size:           2
        .value_kind:     hidden_remainder_z
      - .offset:         120
        .size:           8
        .value_kind:     hidden_global_offset_x
      - .offset:         128
        .size:           8
        .value_kind:     hidden_global_offset_y
      - .offset:         136
        .size:           8
        .value_kind:     hidden_global_offset_z
      - .offset:         144
        .size:           2
        .value_kind:     hidden_grid_dims
    .group_segment_fixed_size: 0
    .kernarg_segment_align: 8
    .kernarg_segment_size: 336
    .language:       OpenCL C
    .language_version:
      - 2
      - 0
    .max_flat_workgroup_size: 1024
    .name:           _ZN9rocsparseL28internal_extract_fill_kernelILj1024E21rocsparse_complex_numIfEliEEvT2_PKT1_PKS3_PKT0_21rocsparse_index_base_b20rocsparse_diag_type_S6_PS3_PS9_SC_
    .private_segment_fixed_size: 0
    .sgpr_count:     24
    .sgpr_spill_count: 0
    .symbol:         _ZN9rocsparseL28internal_extract_fill_kernelILj1024E21rocsparse_complex_numIfEliEEvT2_PKT1_PKS3_PKT0_21rocsparse_index_base_b20rocsparse_diag_type_S6_PS3_PS9_SC_.kd
    .uniform_work_group_size: 1
    .uses_dynamic_stack: false
    .vgpr_count:     20
    .vgpr_spill_count: 0
    .wavefront_size: 64
  - .args:
      - .offset:         0
        .size:           8
        .value_kind:     by_value
      - .actual_access:  read_only
        .address_space:  global
        .offset:         8
        .size:           8
        .value_kind:     global_buffer
      - .actual_access:  read_only
        .address_space:  global
        .offset:         16
        .size:           8
        .value_kind:     global_buffer
      - .actual_access:  read_only
        .address_space:  global
        .offset:         24
        .size:           8
        .value_kind:     global_buffer
      - .offset:         32
        .size:           4
        .value_kind:     by_value
      - .offset:         36
        .size:           1
        .value_kind:     by_value
      - .offset:         40
        .size:           4
        .value_kind:     by_value
      - .actual_access:  read_only
        .address_space:  global
        .offset:         48
        .size:           8
        .value_kind:     global_buffer
      - .actual_access:  write_only
        .address_space:  global
        .offset:         56
        .size:           8
        .value_kind:     global_buffer
      - .actual_access:  write_only
        .address_space:  global
        .offset:         64
        .size:           8
        .value_kind:     global_buffer
      - .offset:         72
        .size:           4
        .value_kind:     by_value
      - .offset:         80
        .size:           4
        .value_kind:     hidden_block_count_x
      - .offset:         84
        .size:           4
        .value_kind:     hidden_block_count_y
      - .offset:         88
        .size:           4
        .value_kind:     hidden_block_count_z
      - .offset:         92
        .size:           2
        .value_kind:     hidden_group_size_x
      - .offset:         94
        .size:           2
        .value_kind:     hidden_group_size_y
      - .offset:         96
        .size:           2
        .value_kind:     hidden_group_size_z
      - .offset:         98
        .size:           2
        .value_kind:     hidden_remainder_x
      - .offset:         100
        .size:           2
        .value_kind:     hidden_remainder_y
      - .offset:         102
        .size:           2
        .value_kind:     hidden_remainder_z
      - .offset:         120
        .size:           8
        .value_kind:     hidden_global_offset_x
      - .offset:         128
        .size:           8
        .value_kind:     hidden_global_offset_y
      - .offset:         136
        .size:           8
        .value_kind:     hidden_global_offset_z
      - .offset:         144
        .size:           2
        .value_kind:     hidden_grid_dims
    .group_segment_fixed_size: 0
    .kernarg_segment_align: 8
    .kernarg_segment_size: 336
    .language:       OpenCL C
    .language_version:
      - 2
      - 0
    .max_flat_workgroup_size: 1024
    .name:           _ZN9rocsparseL28internal_extract_fill_kernelILj1024E21rocsparse_complex_numIfEllEEvT2_PKT1_PKS3_PKT0_21rocsparse_index_base_b20rocsparse_diag_type_S6_PS3_PS9_SC_
    .private_segment_fixed_size: 0
    .sgpr_count:     32
    .sgpr_spill_count: 0
    .symbol:         _ZN9rocsparseL28internal_extract_fill_kernelILj1024E21rocsparse_complex_numIfEllEEvT2_PKT1_PKS3_PKT0_21rocsparse_index_base_b20rocsparse_diag_type_S6_PS3_PS9_SC_.kd
    .uniform_work_group_size: 1
    .uses_dynamic_stack: false
    .vgpr_count:     21
    .vgpr_spill_count: 0
    .wavefront_size: 64
  - .args:
      - .offset:         0
        .size:           4
        .value_kind:     by_value
      - .actual_access:  read_only
        .address_space:  global
        .offset:         8
        .size:           8
        .value_kind:     global_buffer
      - .actual_access:  read_only
        .address_space:  global
        .offset:         16
        .size:           8
        .value_kind:     global_buffer
      - .actual_access:  read_only
        .address_space:  global
        .offset:         24
        .size:           8
        .value_kind:     global_buffer
      - .offset:         32
        .size:           4
        .value_kind:     by_value
      - .offset:         36
        .size:           1
        .value_kind:     by_value
      - .offset:         40
        .size:           4
        .value_kind:     by_value
      - .actual_access:  read_only
        .address_space:  global
        .offset:         48
        .size:           8
        .value_kind:     global_buffer
      - .actual_access:  write_only
        .address_space:  global
        .offset:         56
        .size:           8
        .value_kind:     global_buffer
      - .actual_access:  write_only
        .address_space:  global
        .offset:         64
        .size:           8
        .value_kind:     global_buffer
      - .offset:         72
        .size:           4
        .value_kind:     by_value
      - .offset:         80
        .size:           4
        .value_kind:     hidden_block_count_x
      - .offset:         84
        .size:           4
        .value_kind:     hidden_block_count_y
      - .offset:         88
        .size:           4
        .value_kind:     hidden_block_count_z
      - .offset:         92
        .size:           2
        .value_kind:     hidden_group_size_x
      - .offset:         94
        .size:           2
        .value_kind:     hidden_group_size_y
      - .offset:         96
        .size:           2
        .value_kind:     hidden_group_size_z
      - .offset:         98
        .size:           2
        .value_kind:     hidden_remainder_x
      - .offset:         100
        .size:           2
        .value_kind:     hidden_remainder_y
      - .offset:         102
        .size:           2
        .value_kind:     hidden_remainder_z
      - .offset:         120
        .size:           8
        .value_kind:     hidden_global_offset_x
      - .offset:         128
        .size:           8
        .value_kind:     hidden_global_offset_y
      - .offset:         136
        .size:           8
        .value_kind:     hidden_global_offset_z
      - .offset:         144
        .size:           2
        .value_kind:     hidden_grid_dims
    .group_segment_fixed_size: 0
    .kernarg_segment_align: 8
    .kernarg_segment_size: 336
    .language:       OpenCL C
    .language_version:
      - 2
      - 0
    .max_flat_workgroup_size: 1024
    .name:           _ZN9rocsparseL28internal_extract_fill_kernelILj1024E21rocsparse_complex_numIdEiiEEvT2_PKT1_PKS3_PKT0_21rocsparse_index_base_b20rocsparse_diag_type_S6_PS3_PS9_SC_
    .private_segment_fixed_size: 0
    .sgpr_count:     21
    .sgpr_spill_count: 0
    .symbol:         _ZN9rocsparseL28internal_extract_fill_kernelILj1024E21rocsparse_complex_numIdEiiEEvT2_PKT1_PKS3_PKT0_21rocsparse_index_base_b20rocsparse_diag_type_S6_PS3_PS9_SC_.kd
    .uniform_work_group_size: 1
    .uses_dynamic_stack: false
    .vgpr_count:     19
    .vgpr_spill_count: 0
    .wavefront_size: 64
  - .args:
      - .offset:         0
        .size:           8
        .value_kind:     by_value
      - .actual_access:  read_only
        .address_space:  global
        .offset:         8
        .size:           8
        .value_kind:     global_buffer
      - .actual_access:  read_only
        .address_space:  global
        .offset:         16
        .size:           8
        .value_kind:     global_buffer
      - .actual_access:  read_only
        .address_space:  global
        .offset:         24
        .size:           8
        .value_kind:     global_buffer
      - .offset:         32
        .size:           4
        .value_kind:     by_value
      - .offset:         36
        .size:           1
        .value_kind:     by_value
      - .offset:         40
        .size:           4
        .value_kind:     by_value
      - .actual_access:  read_only
        .address_space:  global
        .offset:         48
        .size:           8
        .value_kind:     global_buffer
      - .actual_access:  write_only
        .address_space:  global
        .offset:         56
        .size:           8
        .value_kind:     global_buffer
      - .actual_access:  write_only
        .address_space:  global
        .offset:         64
        .size:           8
        .value_kind:     global_buffer
      - .offset:         72
        .size:           4
        .value_kind:     by_value
      - .offset:         80
        .size:           4
        .value_kind:     hidden_block_count_x
      - .offset:         84
        .size:           4
        .value_kind:     hidden_block_count_y
      - .offset:         88
        .size:           4
        .value_kind:     hidden_block_count_z
      - .offset:         92
        .size:           2
        .value_kind:     hidden_group_size_x
      - .offset:         94
        .size:           2
        .value_kind:     hidden_group_size_y
      - .offset:         96
        .size:           2
        .value_kind:     hidden_group_size_z
      - .offset:         98
        .size:           2
        .value_kind:     hidden_remainder_x
      - .offset:         100
        .size:           2
        .value_kind:     hidden_remainder_y
      - .offset:         102
        .size:           2
        .value_kind:     hidden_remainder_z
      - .offset:         120
        .size:           8
        .value_kind:     hidden_global_offset_x
      - .offset:         128
        .size:           8
        .value_kind:     hidden_global_offset_y
      - .offset:         136
        .size:           8
        .value_kind:     hidden_global_offset_z
      - .offset:         144
        .size:           2
        .value_kind:     hidden_grid_dims
    .group_segment_fixed_size: 0
    .kernarg_segment_align: 8
    .kernarg_segment_size: 336
    .language:       OpenCL C
    .language_version:
      - 2
      - 0
    .max_flat_workgroup_size: 1024
    .name:           _ZN9rocsparseL28internal_extract_fill_kernelILj1024E21rocsparse_complex_numIdEilEEvT2_PKT1_PKS3_PKT0_21rocsparse_index_base_b20rocsparse_diag_type_S6_PS3_PS9_SC_
    .private_segment_fixed_size: 0
    .sgpr_count:     23
    .sgpr_spill_count: 0
    .symbol:         _ZN9rocsparseL28internal_extract_fill_kernelILj1024E21rocsparse_complex_numIdEilEEvT2_PKT1_PKS3_PKT0_21rocsparse_index_base_b20rocsparse_diag_type_S6_PS3_PS9_SC_.kd
    .uniform_work_group_size: 1
    .uses_dynamic_stack: false
    .vgpr_count:     21
    .vgpr_spill_count: 0
    .wavefront_size: 64
  - .args:
      - .offset:         0
        .size:           4
        .value_kind:     by_value
      - .actual_access:  read_only
        .address_space:  global
        .offset:         8
        .size:           8
        .value_kind:     global_buffer
      - .actual_access:  read_only
        .address_space:  global
        .offset:         16
        .size:           8
        .value_kind:     global_buffer
      - .actual_access:  read_only
        .address_space:  global
        .offset:         24
        .size:           8
        .value_kind:     global_buffer
      - .offset:         32
        .size:           4
        .value_kind:     by_value
      - .offset:         36
        .size:           1
        .value_kind:     by_value
      - .offset:         40
        .size:           4
        .value_kind:     by_value
      - .actual_access:  read_only
        .address_space:  global
        .offset:         48
        .size:           8
        .value_kind:     global_buffer
      - .actual_access:  write_only
        .address_space:  global
        .offset:         56
        .size:           8
        .value_kind:     global_buffer
      - .actual_access:  write_only
        .address_space:  global
        .offset:         64
        .size:           8
        .value_kind:     global_buffer
      - .offset:         72
        .size:           4
        .value_kind:     by_value
      - .offset:         80
        .size:           4
        .value_kind:     hidden_block_count_x
      - .offset:         84
        .size:           4
        .value_kind:     hidden_block_count_y
      - .offset:         88
        .size:           4
        .value_kind:     hidden_block_count_z
      - .offset:         92
        .size:           2
        .value_kind:     hidden_group_size_x
      - .offset:         94
        .size:           2
        .value_kind:     hidden_group_size_y
      - .offset:         96
        .size:           2
        .value_kind:     hidden_group_size_z
      - .offset:         98
        .size:           2
        .value_kind:     hidden_remainder_x
      - .offset:         100
        .size:           2
        .value_kind:     hidden_remainder_y
      - .offset:         102
        .size:           2
        .value_kind:     hidden_remainder_z
      - .offset:         120
        .size:           8
        .value_kind:     hidden_global_offset_x
      - .offset:         128
        .size:           8
        .value_kind:     hidden_global_offset_y
      - .offset:         136
        .size:           8
        .value_kind:     hidden_global_offset_z
      - .offset:         144
        .size:           2
        .value_kind:     hidden_grid_dims
    .group_segment_fixed_size: 0
    .kernarg_segment_align: 8
    .kernarg_segment_size: 336
    .language:       OpenCL C
    .language_version:
      - 2
      - 0
    .max_flat_workgroup_size: 1024
    .name:           _ZN9rocsparseL28internal_extract_fill_kernelILj1024E21rocsparse_complex_numIdEliEEvT2_PKT1_PKS3_PKT0_21rocsparse_index_base_b20rocsparse_diag_type_S6_PS3_PS9_SC_
    .private_segment_fixed_size: 0
    .sgpr_count:     24
    .sgpr_spill_count: 0
    .symbol:         _ZN9rocsparseL28internal_extract_fill_kernelILj1024E21rocsparse_complex_numIdEliEEvT2_PKT1_PKS3_PKT0_21rocsparse_index_base_b20rocsparse_diag_type_S6_PS3_PS9_SC_.kd
    .uniform_work_group_size: 1
    .uses_dynamic_stack: false
    .vgpr_count:     22
    .vgpr_spill_count: 0
    .wavefront_size: 64
  - .args:
      - .offset:         0
        .size:           8
        .value_kind:     by_value
      - .actual_access:  read_only
        .address_space:  global
        .offset:         8
        .size:           8
        .value_kind:     global_buffer
      - .actual_access:  read_only
        .address_space:  global
        .offset:         16
        .size:           8
        .value_kind:     global_buffer
      - .actual_access:  read_only
        .address_space:  global
        .offset:         24
        .size:           8
        .value_kind:     global_buffer
      - .offset:         32
        .size:           4
        .value_kind:     by_value
      - .offset:         36
        .size:           1
        .value_kind:     by_value
      - .offset:         40
        .size:           4
        .value_kind:     by_value
      - .actual_access:  read_only
        .address_space:  global
        .offset:         48
        .size:           8
        .value_kind:     global_buffer
      - .actual_access:  write_only
        .address_space:  global
        .offset:         56
        .size:           8
        .value_kind:     global_buffer
      - .actual_access:  write_only
        .address_space:  global
        .offset:         64
        .size:           8
        .value_kind:     global_buffer
      - .offset:         72
        .size:           4
        .value_kind:     by_value
      - .offset:         80
        .size:           4
        .value_kind:     hidden_block_count_x
      - .offset:         84
        .size:           4
        .value_kind:     hidden_block_count_y
      - .offset:         88
        .size:           4
        .value_kind:     hidden_block_count_z
      - .offset:         92
        .size:           2
        .value_kind:     hidden_group_size_x
      - .offset:         94
        .size:           2
        .value_kind:     hidden_group_size_y
      - .offset:         96
        .size:           2
        .value_kind:     hidden_group_size_z
      - .offset:         98
        .size:           2
        .value_kind:     hidden_remainder_x
      - .offset:         100
        .size:           2
        .value_kind:     hidden_remainder_y
      - .offset:         102
        .size:           2
        .value_kind:     hidden_remainder_z
      - .offset:         120
        .size:           8
        .value_kind:     hidden_global_offset_x
      - .offset:         128
        .size:           8
        .value_kind:     hidden_global_offset_y
      - .offset:         136
        .size:           8
        .value_kind:     hidden_global_offset_z
      - .offset:         144
        .size:           2
        .value_kind:     hidden_grid_dims
    .group_segment_fixed_size: 0
    .kernarg_segment_align: 8
    .kernarg_segment_size: 336
    .language:       OpenCL C
    .language_version:
      - 2
      - 0
    .max_flat_workgroup_size: 1024
    .name:           _ZN9rocsparseL28internal_extract_fill_kernelILj1024E21rocsparse_complex_numIdEllEEvT2_PKT1_PKS3_PKT0_21rocsparse_index_base_b20rocsparse_diag_type_S6_PS3_PS9_SC_
    .private_segment_fixed_size: 0
    .sgpr_count:     23
    .sgpr_spill_count: 0
    .symbol:         _ZN9rocsparseL28internal_extract_fill_kernelILj1024E21rocsparse_complex_numIdEllEEvT2_PKT1_PKS3_PKT0_21rocsparse_index_base_b20rocsparse_diag_type_S6_PS3_PS9_SC_.kd
    .uniform_work_group_size: 1
    .uses_dynamic_stack: false
    .vgpr_count:     19
    .vgpr_spill_count: 0
    .wavefront_size: 64
  - .args:
      - .offset:         0
        .size:           4
        .value_kind:     by_value
      - .actual_access:  read_only
        .address_space:  global
        .offset:         8
        .size:           8
        .value_kind:     global_buffer
      - .actual_access:  read_only
        .address_space:  global
        .offset:         16
        .size:           8
        .value_kind:     global_buffer
      - .actual_access:  read_only
        .address_space:  global
        .offset:         24
        .size:           8
        .value_kind:     global_buffer
      - .offset:         32
        .size:           4
        .value_kind:     by_value
      - .offset:         36
        .size:           1
        .value_kind:     by_value
      - .offset:         40
        .size:           4
        .value_kind:     by_value
      - .actual_access:  read_only
        .address_space:  global
        .offset:         48
        .size:           8
        .value_kind:     global_buffer
      - .actual_access:  write_only
        .address_space:  global
        .offset:         56
        .size:           8
        .value_kind:     global_buffer
      - .actual_access:  write_only
        .address_space:  global
        .offset:         64
        .size:           8
        .value_kind:     global_buffer
      - .offset:         72
        .size:           4
        .value_kind:     by_value
      - .offset:         80
        .size:           4
        .value_kind:     hidden_block_count_x
      - .offset:         84
        .size:           4
        .value_kind:     hidden_block_count_y
      - .offset:         88
        .size:           4
        .value_kind:     hidden_block_count_z
      - .offset:         92
        .size:           2
        .value_kind:     hidden_group_size_x
      - .offset:         94
        .size:           2
        .value_kind:     hidden_group_size_y
      - .offset:         96
        .size:           2
        .value_kind:     hidden_group_size_z
      - .offset:         98
        .size:           2
        .value_kind:     hidden_remainder_x
      - .offset:         100
        .size:           2
        .value_kind:     hidden_remainder_y
      - .offset:         102
        .size:           2
        .value_kind:     hidden_remainder_z
      - .offset:         120
        .size:           8
        .value_kind:     hidden_global_offset_x
      - .offset:         128
        .size:           8
        .value_kind:     hidden_global_offset_y
      - .offset:         136
        .size:           8
        .value_kind:     hidden_global_offset_z
      - .offset:         144
        .size:           2
        .value_kind:     hidden_grid_dims
    .group_segment_fixed_size: 0
    .kernarg_segment_align: 8
    .kernarg_segment_size: 336
    .language:       OpenCL C
    .language_version:
      - 2
      - 0
    .max_flat_workgroup_size: 1024
    .name:           _ZN9rocsparseL28internal_extract_fill_kernelILj1024EaiiEEvT2_PKT1_PKS1_PKT0_21rocsparse_index_base_b20rocsparse_diag_type_S4_PS1_PS7_SA_
    .private_segment_fixed_size: 0
    .sgpr_count:     21
    .sgpr_spill_count: 0
    .symbol:         _ZN9rocsparseL28internal_extract_fill_kernelILj1024EaiiEEvT2_PKT1_PKS1_PKT0_21rocsparse_index_base_b20rocsparse_diag_type_S4_PS1_PS7_SA_.kd
    .uniform_work_group_size: 1
    .uses_dynamic_stack: false
    .vgpr_count:     15
    .vgpr_spill_count: 0
    .wavefront_size: 64
  - .args:
      - .offset:         0
        .size:           8
        .value_kind:     by_value
      - .actual_access:  read_only
        .address_space:  global
        .offset:         8
        .size:           8
        .value_kind:     global_buffer
      - .actual_access:  read_only
        .address_space:  global
        .offset:         16
        .size:           8
        .value_kind:     global_buffer
      - .actual_access:  read_only
        .address_space:  global
        .offset:         24
        .size:           8
        .value_kind:     global_buffer
      - .offset:         32
        .size:           4
        .value_kind:     by_value
      - .offset:         36
        .size:           1
        .value_kind:     by_value
      - .offset:         40
        .size:           4
        .value_kind:     by_value
      - .actual_access:  read_only
        .address_space:  global
        .offset:         48
        .size:           8
        .value_kind:     global_buffer
      - .actual_access:  write_only
        .address_space:  global
        .offset:         56
        .size:           8
        .value_kind:     global_buffer
      - .actual_access:  write_only
        .address_space:  global
        .offset:         64
        .size:           8
        .value_kind:     global_buffer
      - .offset:         72
        .size:           4
        .value_kind:     by_value
      - .offset:         80
        .size:           4
        .value_kind:     hidden_block_count_x
      - .offset:         84
        .size:           4
        .value_kind:     hidden_block_count_y
      - .offset:         88
        .size:           4
        .value_kind:     hidden_block_count_z
      - .offset:         92
        .size:           2
        .value_kind:     hidden_group_size_x
      - .offset:         94
        .size:           2
        .value_kind:     hidden_group_size_y
      - .offset:         96
        .size:           2
        .value_kind:     hidden_group_size_z
      - .offset:         98
        .size:           2
        .value_kind:     hidden_remainder_x
      - .offset:         100
        .size:           2
        .value_kind:     hidden_remainder_y
      - .offset:         102
        .size:           2
        .value_kind:     hidden_remainder_z
      - .offset:         120
        .size:           8
        .value_kind:     hidden_global_offset_x
      - .offset:         128
        .size:           8
        .value_kind:     hidden_global_offset_y
      - .offset:         136
        .size:           8
        .value_kind:     hidden_global_offset_z
      - .offset:         144
        .size:           2
        .value_kind:     hidden_grid_dims
    .group_segment_fixed_size: 0
    .kernarg_segment_align: 8
    .kernarg_segment_size: 336
    .language:       OpenCL C
    .language_version:
      - 2
      - 0
    .max_flat_workgroup_size: 1024
    .name:           _ZN9rocsparseL28internal_extract_fill_kernelILj1024EailEEvT2_PKT1_PKS1_PKT0_21rocsparse_index_base_b20rocsparse_diag_type_S4_PS1_PS7_SA_
    .private_segment_fixed_size: 0
    .sgpr_count:     23
    .sgpr_spill_count: 0
    .symbol:         _ZN9rocsparseL28internal_extract_fill_kernelILj1024EailEEvT2_PKT1_PKS1_PKT0_21rocsparse_index_base_b20rocsparse_diag_type_S4_PS1_PS7_SA_.kd
    .uniform_work_group_size: 1
    .uses_dynamic_stack: false
    .vgpr_count:     17
    .vgpr_spill_count: 0
    .wavefront_size: 64
  - .args:
      - .offset:         0
        .size:           4
        .value_kind:     by_value
      - .actual_access:  read_only
        .address_space:  global
        .offset:         8
        .size:           8
        .value_kind:     global_buffer
      - .actual_access:  read_only
        .address_space:  global
        .offset:         16
        .size:           8
        .value_kind:     global_buffer
      - .actual_access:  read_only
        .address_space:  global
        .offset:         24
        .size:           8
        .value_kind:     global_buffer
      - .offset:         32
        .size:           4
        .value_kind:     by_value
      - .offset:         36
        .size:           1
        .value_kind:     by_value
      - .offset:         40
        .size:           4
        .value_kind:     by_value
      - .actual_access:  read_only
        .address_space:  global
        .offset:         48
        .size:           8
        .value_kind:     global_buffer
      - .actual_access:  write_only
        .address_space:  global
        .offset:         56
        .size:           8
        .value_kind:     global_buffer
      - .actual_access:  write_only
        .address_space:  global
        .offset:         64
        .size:           8
        .value_kind:     global_buffer
      - .offset:         72
        .size:           4
        .value_kind:     by_value
      - .offset:         80
        .size:           4
        .value_kind:     hidden_block_count_x
      - .offset:         84
        .size:           4
        .value_kind:     hidden_block_count_y
      - .offset:         88
        .size:           4
        .value_kind:     hidden_block_count_z
      - .offset:         92
        .size:           2
        .value_kind:     hidden_group_size_x
      - .offset:         94
        .size:           2
        .value_kind:     hidden_group_size_y
      - .offset:         96
        .size:           2
        .value_kind:     hidden_group_size_z
      - .offset:         98
        .size:           2
        .value_kind:     hidden_remainder_x
      - .offset:         100
        .size:           2
        .value_kind:     hidden_remainder_y
      - .offset:         102
        .size:           2
        .value_kind:     hidden_remainder_z
      - .offset:         120
        .size:           8
        .value_kind:     hidden_global_offset_x
      - .offset:         128
        .size:           8
        .value_kind:     hidden_global_offset_y
      - .offset:         136
        .size:           8
        .value_kind:     hidden_global_offset_z
      - .offset:         144
        .size:           2
        .value_kind:     hidden_grid_dims
    .group_segment_fixed_size: 0
    .kernarg_segment_align: 8
    .kernarg_segment_size: 336
    .language:       OpenCL C
    .language_version:
      - 2
      - 0
    .max_flat_workgroup_size: 1024
    .name:           _ZN9rocsparseL28internal_extract_fill_kernelILj1024EaliEEvT2_PKT1_PKS1_PKT0_21rocsparse_index_base_b20rocsparse_diag_type_S4_PS1_PS7_SA_
    .private_segment_fixed_size: 0
    .sgpr_count:     23
    .sgpr_spill_count: 0
    .symbol:         _ZN9rocsparseL28internal_extract_fill_kernelILj1024EaliEEvT2_PKT1_PKS1_PKT0_21rocsparse_index_base_b20rocsparse_diag_type_S4_PS1_PS7_SA_.kd
    .uniform_work_group_size: 1
    .uses_dynamic_stack: false
    .vgpr_count:     17
    .vgpr_spill_count: 0
    .wavefront_size: 64
  - .args:
      - .offset:         0
        .size:           8
        .value_kind:     by_value
      - .actual_access:  read_only
        .address_space:  global
        .offset:         8
        .size:           8
        .value_kind:     global_buffer
      - .actual_access:  read_only
        .address_space:  global
        .offset:         16
        .size:           8
        .value_kind:     global_buffer
      - .actual_access:  read_only
        .address_space:  global
        .offset:         24
        .size:           8
        .value_kind:     global_buffer
      - .offset:         32
        .size:           4
        .value_kind:     by_value
      - .offset:         36
        .size:           1
        .value_kind:     by_value
      - .offset:         40
        .size:           4
        .value_kind:     by_value
      - .actual_access:  read_only
        .address_space:  global
        .offset:         48
        .size:           8
        .value_kind:     global_buffer
      - .actual_access:  write_only
        .address_space:  global
        .offset:         56
        .size:           8
        .value_kind:     global_buffer
      - .actual_access:  write_only
        .address_space:  global
        .offset:         64
        .size:           8
        .value_kind:     global_buffer
      - .offset:         72
        .size:           4
        .value_kind:     by_value
      - .offset:         80
        .size:           4
        .value_kind:     hidden_block_count_x
      - .offset:         84
        .size:           4
        .value_kind:     hidden_block_count_y
      - .offset:         88
        .size:           4
        .value_kind:     hidden_block_count_z
      - .offset:         92
        .size:           2
        .value_kind:     hidden_group_size_x
      - .offset:         94
        .size:           2
        .value_kind:     hidden_group_size_y
      - .offset:         96
        .size:           2
        .value_kind:     hidden_group_size_z
      - .offset:         98
        .size:           2
        .value_kind:     hidden_remainder_x
      - .offset:         100
        .size:           2
        .value_kind:     hidden_remainder_y
      - .offset:         102
        .size:           2
        .value_kind:     hidden_remainder_z
      - .offset:         120
        .size:           8
        .value_kind:     hidden_global_offset_x
      - .offset:         128
        .size:           8
        .value_kind:     hidden_global_offset_y
      - .offset:         136
        .size:           8
        .value_kind:     hidden_global_offset_z
      - .offset:         144
        .size:           2
        .value_kind:     hidden_grid_dims
    .group_segment_fixed_size: 0
    .kernarg_segment_align: 8
    .kernarg_segment_size: 336
    .language:       OpenCL C
    .language_version:
      - 2
      - 0
    .max_flat_workgroup_size: 1024
    .name:           _ZN9rocsparseL28internal_extract_fill_kernelILj1024EallEEvT2_PKT1_PKS1_PKT0_21rocsparse_index_base_b20rocsparse_diag_type_S4_PS1_PS7_SA_
    .private_segment_fixed_size: 0
    .sgpr_count:     25
    .sgpr_spill_count: 0
    .symbol:         _ZN9rocsparseL28internal_extract_fill_kernelILj1024EallEEvT2_PKT1_PKS1_PKT0_21rocsparse_index_base_b20rocsparse_diag_type_S4_PS1_PS7_SA_.kd
    .uniform_work_group_size: 1
    .uses_dynamic_stack: false
    .vgpr_count:     19
    .vgpr_spill_count: 0
    .wavefront_size: 64
  - .args:
      - .offset:         0
        .size:           4
        .value_kind:     by_value
      - .actual_access:  read_only
        .address_space:  global
        .offset:         8
        .size:           8
        .value_kind:     global_buffer
      - .actual_access:  read_only
        .address_space:  global
        .offset:         16
        .size:           8
        .value_kind:     global_buffer
      - .actual_access:  read_only
        .address_space:  global
        .offset:         24
        .size:           8
        .value_kind:     global_buffer
      - .offset:         32
        .size:           4
        .value_kind:     by_value
      - .offset:         36
        .size:           1
        .value_kind:     by_value
      - .offset:         40
        .size:           4
        .value_kind:     by_value
      - .actual_access:  read_only
        .address_space:  global
        .offset:         48
        .size:           8
        .value_kind:     global_buffer
      - .actual_access:  write_only
        .address_space:  global
        .offset:         56
        .size:           8
        .value_kind:     global_buffer
      - .actual_access:  write_only
        .address_space:  global
        .offset:         64
        .size:           8
        .value_kind:     global_buffer
      - .offset:         72
        .size:           4
        .value_kind:     by_value
      - .offset:         80
        .size:           4
        .value_kind:     hidden_block_count_x
      - .offset:         84
        .size:           4
        .value_kind:     hidden_block_count_y
      - .offset:         88
        .size:           4
        .value_kind:     hidden_block_count_z
      - .offset:         92
        .size:           2
        .value_kind:     hidden_group_size_x
      - .offset:         94
        .size:           2
        .value_kind:     hidden_group_size_y
      - .offset:         96
        .size:           2
        .value_kind:     hidden_group_size_z
      - .offset:         98
        .size:           2
        .value_kind:     hidden_remainder_x
      - .offset:         100
        .size:           2
        .value_kind:     hidden_remainder_y
      - .offset:         102
        .size:           2
        .value_kind:     hidden_remainder_z
      - .offset:         120
        .size:           8
        .value_kind:     hidden_global_offset_x
      - .offset:         128
        .size:           8
        .value_kind:     hidden_global_offset_y
      - .offset:         136
        .size:           8
        .value_kind:     hidden_global_offset_z
      - .offset:         144
        .size:           2
        .value_kind:     hidden_grid_dims
    .group_segment_fixed_size: 0
    .kernarg_segment_align: 8
    .kernarg_segment_size: 336
    .language:       OpenCL C
    .language_version:
      - 2
      - 0
    .max_flat_workgroup_size: 1024
    .name:           _ZN9rocsparseL28internal_extract_fill_kernelILj1024EhiiEEvT2_PKT1_PKS1_PKT0_21rocsparse_index_base_b20rocsparse_diag_type_S4_PS1_PS7_SA_
    .private_segment_fixed_size: 0
    .sgpr_count:     21
    .sgpr_spill_count: 0
    .symbol:         _ZN9rocsparseL28internal_extract_fill_kernelILj1024EhiiEEvT2_PKT1_PKS1_PKT0_21rocsparse_index_base_b20rocsparse_diag_type_S4_PS1_PS7_SA_.kd
    .uniform_work_group_size: 1
    .uses_dynamic_stack: false
    .vgpr_count:     15
    .vgpr_spill_count: 0
    .wavefront_size: 64
  - .args:
      - .offset:         0
        .size:           8
        .value_kind:     by_value
      - .actual_access:  read_only
        .address_space:  global
        .offset:         8
        .size:           8
        .value_kind:     global_buffer
      - .actual_access:  read_only
        .address_space:  global
        .offset:         16
        .size:           8
        .value_kind:     global_buffer
      - .actual_access:  read_only
        .address_space:  global
        .offset:         24
        .size:           8
        .value_kind:     global_buffer
      - .offset:         32
        .size:           4
        .value_kind:     by_value
      - .offset:         36
        .size:           1
        .value_kind:     by_value
      - .offset:         40
        .size:           4
        .value_kind:     by_value
      - .actual_access:  read_only
        .address_space:  global
        .offset:         48
        .size:           8
        .value_kind:     global_buffer
      - .actual_access:  write_only
        .address_space:  global
        .offset:         56
        .size:           8
        .value_kind:     global_buffer
      - .actual_access:  write_only
        .address_space:  global
        .offset:         64
        .size:           8
        .value_kind:     global_buffer
      - .offset:         72
        .size:           4
        .value_kind:     by_value
      - .offset:         80
        .size:           4
        .value_kind:     hidden_block_count_x
      - .offset:         84
        .size:           4
        .value_kind:     hidden_block_count_y
      - .offset:         88
        .size:           4
        .value_kind:     hidden_block_count_z
      - .offset:         92
        .size:           2
        .value_kind:     hidden_group_size_x
      - .offset:         94
        .size:           2
        .value_kind:     hidden_group_size_y
      - .offset:         96
        .size:           2
        .value_kind:     hidden_group_size_z
      - .offset:         98
        .size:           2
        .value_kind:     hidden_remainder_x
      - .offset:         100
        .size:           2
        .value_kind:     hidden_remainder_y
      - .offset:         102
        .size:           2
        .value_kind:     hidden_remainder_z
      - .offset:         120
        .size:           8
        .value_kind:     hidden_global_offset_x
      - .offset:         128
        .size:           8
        .value_kind:     hidden_global_offset_y
      - .offset:         136
        .size:           8
        .value_kind:     hidden_global_offset_z
      - .offset:         144
        .size:           2
        .value_kind:     hidden_grid_dims
    .group_segment_fixed_size: 0
    .kernarg_segment_align: 8
    .kernarg_segment_size: 336
    .language:       OpenCL C
    .language_version:
      - 2
      - 0
    .max_flat_workgroup_size: 1024
    .name:           _ZN9rocsparseL28internal_extract_fill_kernelILj1024EhilEEvT2_PKT1_PKS1_PKT0_21rocsparse_index_base_b20rocsparse_diag_type_S4_PS1_PS7_SA_
    .private_segment_fixed_size: 0
    .sgpr_count:     23
    .sgpr_spill_count: 0
    .symbol:         _ZN9rocsparseL28internal_extract_fill_kernelILj1024EhilEEvT2_PKT1_PKS1_PKT0_21rocsparse_index_base_b20rocsparse_diag_type_S4_PS1_PS7_SA_.kd
    .uniform_work_group_size: 1
    .uses_dynamic_stack: false
    .vgpr_count:     17
    .vgpr_spill_count: 0
    .wavefront_size: 64
  - .args:
      - .offset:         0
        .size:           4
        .value_kind:     by_value
      - .actual_access:  read_only
        .address_space:  global
        .offset:         8
        .size:           8
        .value_kind:     global_buffer
      - .actual_access:  read_only
        .address_space:  global
        .offset:         16
        .size:           8
        .value_kind:     global_buffer
      - .actual_access:  read_only
        .address_space:  global
        .offset:         24
        .size:           8
        .value_kind:     global_buffer
      - .offset:         32
        .size:           4
        .value_kind:     by_value
      - .offset:         36
        .size:           1
        .value_kind:     by_value
      - .offset:         40
        .size:           4
        .value_kind:     by_value
      - .actual_access:  read_only
        .address_space:  global
        .offset:         48
        .size:           8
        .value_kind:     global_buffer
      - .actual_access:  write_only
        .address_space:  global
        .offset:         56
        .size:           8
        .value_kind:     global_buffer
      - .actual_access:  write_only
        .address_space:  global
        .offset:         64
        .size:           8
        .value_kind:     global_buffer
      - .offset:         72
        .size:           4
        .value_kind:     by_value
      - .offset:         80
        .size:           4
        .value_kind:     hidden_block_count_x
      - .offset:         84
        .size:           4
        .value_kind:     hidden_block_count_y
      - .offset:         88
        .size:           4
        .value_kind:     hidden_block_count_z
      - .offset:         92
        .size:           2
        .value_kind:     hidden_group_size_x
      - .offset:         94
        .size:           2
        .value_kind:     hidden_group_size_y
      - .offset:         96
        .size:           2
        .value_kind:     hidden_group_size_z
      - .offset:         98
        .size:           2
        .value_kind:     hidden_remainder_x
      - .offset:         100
        .size:           2
        .value_kind:     hidden_remainder_y
      - .offset:         102
        .size:           2
        .value_kind:     hidden_remainder_z
      - .offset:         120
        .size:           8
        .value_kind:     hidden_global_offset_x
      - .offset:         128
        .size:           8
        .value_kind:     hidden_global_offset_y
      - .offset:         136
        .size:           8
        .value_kind:     hidden_global_offset_z
      - .offset:         144
        .size:           2
        .value_kind:     hidden_grid_dims
    .group_segment_fixed_size: 0
    .kernarg_segment_align: 8
    .kernarg_segment_size: 336
    .language:       OpenCL C
    .language_version:
      - 2
      - 0
    .max_flat_workgroup_size: 1024
    .name:           _ZN9rocsparseL28internal_extract_fill_kernelILj1024EhliEEvT2_PKT1_PKS1_PKT0_21rocsparse_index_base_b20rocsparse_diag_type_S4_PS1_PS7_SA_
    .private_segment_fixed_size: 0
    .sgpr_count:     23
    .sgpr_spill_count: 0
    .symbol:         _ZN9rocsparseL28internal_extract_fill_kernelILj1024EhliEEvT2_PKT1_PKS1_PKT0_21rocsparse_index_base_b20rocsparse_diag_type_S4_PS1_PS7_SA_.kd
    .uniform_work_group_size: 1
    .uses_dynamic_stack: false
    .vgpr_count:     17
    .vgpr_spill_count: 0
    .wavefront_size: 64
  - .args:
      - .offset:         0
        .size:           8
        .value_kind:     by_value
      - .actual_access:  read_only
        .address_space:  global
        .offset:         8
        .size:           8
        .value_kind:     global_buffer
      - .actual_access:  read_only
        .address_space:  global
        .offset:         16
        .size:           8
        .value_kind:     global_buffer
      - .actual_access:  read_only
        .address_space:  global
        .offset:         24
        .size:           8
        .value_kind:     global_buffer
      - .offset:         32
        .size:           4
        .value_kind:     by_value
      - .offset:         36
        .size:           1
        .value_kind:     by_value
      - .offset:         40
        .size:           4
        .value_kind:     by_value
      - .actual_access:  read_only
        .address_space:  global
        .offset:         48
        .size:           8
        .value_kind:     global_buffer
      - .actual_access:  write_only
        .address_space:  global
        .offset:         56
        .size:           8
        .value_kind:     global_buffer
      - .actual_access:  write_only
        .address_space:  global
        .offset:         64
        .size:           8
        .value_kind:     global_buffer
      - .offset:         72
        .size:           4
        .value_kind:     by_value
      - .offset:         80
        .size:           4
        .value_kind:     hidden_block_count_x
      - .offset:         84
        .size:           4
        .value_kind:     hidden_block_count_y
      - .offset:         88
        .size:           4
        .value_kind:     hidden_block_count_z
      - .offset:         92
        .size:           2
        .value_kind:     hidden_group_size_x
      - .offset:         94
        .size:           2
        .value_kind:     hidden_group_size_y
      - .offset:         96
        .size:           2
        .value_kind:     hidden_group_size_z
      - .offset:         98
        .size:           2
        .value_kind:     hidden_remainder_x
      - .offset:         100
        .size:           2
        .value_kind:     hidden_remainder_y
      - .offset:         102
        .size:           2
        .value_kind:     hidden_remainder_z
      - .offset:         120
        .size:           8
        .value_kind:     hidden_global_offset_x
      - .offset:         128
        .size:           8
        .value_kind:     hidden_global_offset_y
      - .offset:         136
        .size:           8
        .value_kind:     hidden_global_offset_z
      - .offset:         144
        .size:           2
        .value_kind:     hidden_grid_dims
    .group_segment_fixed_size: 0
    .kernarg_segment_align: 8
    .kernarg_segment_size: 336
    .language:       OpenCL C
    .language_version:
      - 2
      - 0
    .max_flat_workgroup_size: 1024
    .name:           _ZN9rocsparseL28internal_extract_fill_kernelILj1024EhllEEvT2_PKT1_PKS1_PKT0_21rocsparse_index_base_b20rocsparse_diag_type_S4_PS1_PS7_SA_
    .private_segment_fixed_size: 0
    .sgpr_count:     25
    .sgpr_spill_count: 0
    .symbol:         _ZN9rocsparseL28internal_extract_fill_kernelILj1024EhllEEvT2_PKT1_PKS1_PKT0_21rocsparse_index_base_b20rocsparse_diag_type_S4_PS1_PS7_SA_.kd
    .uniform_work_group_size: 1
    .uses_dynamic_stack: false
    .vgpr_count:     19
    .vgpr_spill_count: 0
    .wavefront_size: 64
  - .args:
      - .offset:         0
        .size:           4
        .value_kind:     by_value
      - .actual_access:  read_only
        .address_space:  global
        .offset:         8
        .size:           8
        .value_kind:     global_buffer
      - .actual_access:  read_only
        .address_space:  global
        .offset:         16
        .size:           8
        .value_kind:     global_buffer
      - .actual_access:  read_only
        .address_space:  global
        .offset:         24
        .size:           8
        .value_kind:     global_buffer
      - .offset:         32
        .size:           4
        .value_kind:     by_value
      - .offset:         36
        .size:           1
        .value_kind:     by_value
      - .offset:         40
        .size:           4
        .value_kind:     by_value
      - .actual_access:  read_only
        .address_space:  global
        .offset:         48
        .size:           8
        .value_kind:     global_buffer
      - .actual_access:  write_only
        .address_space:  global
        .offset:         56
        .size:           8
        .value_kind:     global_buffer
      - .actual_access:  write_only
        .address_space:  global
        .offset:         64
        .size:           8
        .value_kind:     global_buffer
      - .offset:         72
        .size:           4
        .value_kind:     by_value
      - .offset:         80
        .size:           4
        .value_kind:     hidden_block_count_x
      - .offset:         84
        .size:           4
        .value_kind:     hidden_block_count_y
      - .offset:         88
        .size:           4
        .value_kind:     hidden_block_count_z
      - .offset:         92
        .size:           2
        .value_kind:     hidden_group_size_x
      - .offset:         94
        .size:           2
        .value_kind:     hidden_group_size_y
      - .offset:         96
        .size:           2
        .value_kind:     hidden_group_size_z
      - .offset:         98
        .size:           2
        .value_kind:     hidden_remainder_x
      - .offset:         100
        .size:           2
        .value_kind:     hidden_remainder_y
      - .offset:         102
        .size:           2
        .value_kind:     hidden_remainder_z
      - .offset:         120
        .size:           8
        .value_kind:     hidden_global_offset_x
      - .offset:         128
        .size:           8
        .value_kind:     hidden_global_offset_y
      - .offset:         136
        .size:           8
        .value_kind:     hidden_global_offset_z
      - .offset:         144
        .size:           2
        .value_kind:     hidden_grid_dims
    .group_segment_fixed_size: 0
    .kernarg_segment_align: 8
    .kernarg_segment_size: 336
    .language:       OpenCL C
    .language_version:
      - 2
      - 0
    .max_flat_workgroup_size: 1024
    .name:           _ZN9rocsparseL28internal_extract_fill_kernelILj1024EiiiEEvT2_PKT1_PKS1_PKT0_21rocsparse_index_base_b20rocsparse_diag_type_S4_PS1_PS7_SA_
    .private_segment_fixed_size: 0
    .sgpr_count:     21
    .sgpr_spill_count: 0
    .symbol:         _ZN9rocsparseL28internal_extract_fill_kernelILj1024EiiiEEvT2_PKT1_PKS1_PKT0_21rocsparse_index_base_b20rocsparse_diag_type_S4_PS1_PS7_SA_.kd
    .uniform_work_group_size: 1
    .uses_dynamic_stack: false
    .vgpr_count:     15
    .vgpr_spill_count: 0
    .wavefront_size: 64
  - .args:
      - .offset:         0
        .size:           8
        .value_kind:     by_value
      - .actual_access:  read_only
        .address_space:  global
        .offset:         8
        .size:           8
        .value_kind:     global_buffer
      - .actual_access:  read_only
        .address_space:  global
        .offset:         16
        .size:           8
        .value_kind:     global_buffer
      - .actual_access:  read_only
        .address_space:  global
        .offset:         24
        .size:           8
        .value_kind:     global_buffer
      - .offset:         32
        .size:           4
        .value_kind:     by_value
      - .offset:         36
        .size:           1
        .value_kind:     by_value
      - .offset:         40
        .size:           4
        .value_kind:     by_value
      - .actual_access:  read_only
        .address_space:  global
        .offset:         48
        .size:           8
        .value_kind:     global_buffer
      - .actual_access:  write_only
        .address_space:  global
        .offset:         56
        .size:           8
        .value_kind:     global_buffer
      - .actual_access:  write_only
        .address_space:  global
        .offset:         64
        .size:           8
        .value_kind:     global_buffer
      - .offset:         72
        .size:           4
        .value_kind:     by_value
      - .offset:         80
        .size:           4
        .value_kind:     hidden_block_count_x
      - .offset:         84
        .size:           4
        .value_kind:     hidden_block_count_y
      - .offset:         88
        .size:           4
        .value_kind:     hidden_block_count_z
      - .offset:         92
        .size:           2
        .value_kind:     hidden_group_size_x
      - .offset:         94
        .size:           2
        .value_kind:     hidden_group_size_y
      - .offset:         96
        .size:           2
        .value_kind:     hidden_group_size_z
      - .offset:         98
        .size:           2
        .value_kind:     hidden_remainder_x
      - .offset:         100
        .size:           2
        .value_kind:     hidden_remainder_y
      - .offset:         102
        .size:           2
        .value_kind:     hidden_remainder_z
      - .offset:         120
        .size:           8
        .value_kind:     hidden_global_offset_x
      - .offset:         128
        .size:           8
        .value_kind:     hidden_global_offset_y
      - .offset:         136
        .size:           8
        .value_kind:     hidden_global_offset_z
      - .offset:         144
        .size:           2
        .value_kind:     hidden_grid_dims
    .group_segment_fixed_size: 0
    .kernarg_segment_align: 8
    .kernarg_segment_size: 336
    .language:       OpenCL C
    .language_version:
      - 2
      - 0
    .max_flat_workgroup_size: 1024
    .name:           _ZN9rocsparseL28internal_extract_fill_kernelILj1024EiilEEvT2_PKT1_PKS1_PKT0_21rocsparse_index_base_b20rocsparse_diag_type_S4_PS1_PS7_SA_
    .private_segment_fixed_size: 0
    .sgpr_count:     23
    .sgpr_spill_count: 0
    .symbol:         _ZN9rocsparseL28internal_extract_fill_kernelILj1024EiilEEvT2_PKT1_PKS1_PKT0_21rocsparse_index_base_b20rocsparse_diag_type_S4_PS1_PS7_SA_.kd
    .uniform_work_group_size: 1
    .uses_dynamic_stack: false
    .vgpr_count:     18
    .vgpr_spill_count: 0
    .wavefront_size: 64
  - .args:
      - .offset:         0
        .size:           4
        .value_kind:     by_value
      - .actual_access:  read_only
        .address_space:  global
        .offset:         8
        .size:           8
        .value_kind:     global_buffer
      - .actual_access:  read_only
        .address_space:  global
        .offset:         16
        .size:           8
        .value_kind:     global_buffer
      - .actual_access:  read_only
        .address_space:  global
        .offset:         24
        .size:           8
        .value_kind:     global_buffer
      - .offset:         32
        .size:           4
        .value_kind:     by_value
      - .offset:         36
        .size:           1
        .value_kind:     by_value
      - .offset:         40
        .size:           4
        .value_kind:     by_value
      - .actual_access:  read_only
        .address_space:  global
        .offset:         48
        .size:           8
        .value_kind:     global_buffer
      - .actual_access:  write_only
        .address_space:  global
        .offset:         56
        .size:           8
        .value_kind:     global_buffer
      - .actual_access:  write_only
        .address_space:  global
        .offset:         64
        .size:           8
        .value_kind:     global_buffer
      - .offset:         72
        .size:           4
        .value_kind:     by_value
      - .offset:         80
        .size:           4
        .value_kind:     hidden_block_count_x
      - .offset:         84
        .size:           4
        .value_kind:     hidden_block_count_y
      - .offset:         88
        .size:           4
        .value_kind:     hidden_block_count_z
      - .offset:         92
        .size:           2
        .value_kind:     hidden_group_size_x
      - .offset:         94
        .size:           2
        .value_kind:     hidden_group_size_y
      - .offset:         96
        .size:           2
        .value_kind:     hidden_group_size_z
      - .offset:         98
        .size:           2
        .value_kind:     hidden_remainder_x
      - .offset:         100
        .size:           2
        .value_kind:     hidden_remainder_y
      - .offset:         102
        .size:           2
        .value_kind:     hidden_remainder_z
      - .offset:         120
        .size:           8
        .value_kind:     hidden_global_offset_x
      - .offset:         128
        .size:           8
        .value_kind:     hidden_global_offset_y
      - .offset:         136
        .size:           8
        .value_kind:     hidden_global_offset_z
      - .offset:         144
        .size:           2
        .value_kind:     hidden_grid_dims
    .group_segment_fixed_size: 0
    .kernarg_segment_align: 8
    .kernarg_segment_size: 336
    .language:       OpenCL C
    .language_version:
      - 2
      - 0
    .max_flat_workgroup_size: 1024
    .name:           _ZN9rocsparseL28internal_extract_fill_kernelILj1024EiliEEvT2_PKT1_PKS1_PKT0_21rocsparse_index_base_b20rocsparse_diag_type_S4_PS1_PS7_SA_
    .private_segment_fixed_size: 0
    .sgpr_count:     21
    .sgpr_spill_count: 0
    .symbol:         _ZN9rocsparseL28internal_extract_fill_kernelILj1024EiliEEvT2_PKT1_PKS1_PKT0_21rocsparse_index_base_b20rocsparse_diag_type_S4_PS1_PS7_SA_.kd
    .uniform_work_group_size: 1
    .uses_dynamic_stack: false
    .vgpr_count:     18
    .vgpr_spill_count: 0
    .wavefront_size: 64
  - .args:
      - .offset:         0
        .size:           8
        .value_kind:     by_value
      - .actual_access:  read_only
        .address_space:  global
        .offset:         8
        .size:           8
        .value_kind:     global_buffer
      - .actual_access:  read_only
        .address_space:  global
        .offset:         16
        .size:           8
        .value_kind:     global_buffer
      - .actual_access:  read_only
        .address_space:  global
        .offset:         24
        .size:           8
        .value_kind:     global_buffer
      - .offset:         32
        .size:           4
        .value_kind:     by_value
      - .offset:         36
        .size:           1
        .value_kind:     by_value
      - .offset:         40
        .size:           4
        .value_kind:     by_value
      - .actual_access:  read_only
        .address_space:  global
        .offset:         48
        .size:           8
        .value_kind:     global_buffer
      - .actual_access:  write_only
        .address_space:  global
        .offset:         56
        .size:           8
        .value_kind:     global_buffer
      - .actual_access:  write_only
        .address_space:  global
        .offset:         64
        .size:           8
        .value_kind:     global_buffer
      - .offset:         72
        .size:           4
        .value_kind:     by_value
      - .offset:         80
        .size:           4
        .value_kind:     hidden_block_count_x
      - .offset:         84
        .size:           4
        .value_kind:     hidden_block_count_y
      - .offset:         88
        .size:           4
        .value_kind:     hidden_block_count_z
      - .offset:         92
        .size:           2
        .value_kind:     hidden_group_size_x
      - .offset:         94
        .size:           2
        .value_kind:     hidden_group_size_y
      - .offset:         96
        .size:           2
        .value_kind:     hidden_group_size_z
      - .offset:         98
        .size:           2
        .value_kind:     hidden_remainder_x
      - .offset:         100
        .size:           2
        .value_kind:     hidden_remainder_y
      - .offset:         102
        .size:           2
        .value_kind:     hidden_remainder_z
      - .offset:         120
        .size:           8
        .value_kind:     hidden_global_offset_x
      - .offset:         128
        .size:           8
        .value_kind:     hidden_global_offset_y
      - .offset:         136
        .size:           8
        .value_kind:     hidden_global_offset_z
      - .offset:         144
        .size:           2
        .value_kind:     hidden_grid_dims
    .group_segment_fixed_size: 0
    .kernarg_segment_align: 8
    .kernarg_segment_size: 336
    .language:       OpenCL C
    .language_version:
      - 2
      - 0
    .max_flat_workgroup_size: 1024
    .name:           _ZN9rocsparseL28internal_extract_fill_kernelILj1024EillEEvT2_PKT1_PKS1_PKT0_21rocsparse_index_base_b20rocsparse_diag_type_S4_PS1_PS7_SA_
    .private_segment_fixed_size: 0
    .sgpr_count:     23
    .sgpr_spill_count: 0
    .symbol:         _ZN9rocsparseL28internal_extract_fill_kernelILj1024EillEEvT2_PKT1_PKS1_PKT0_21rocsparse_index_base_b20rocsparse_diag_type_S4_PS1_PS7_SA_.kd
    .uniform_work_group_size: 1
    .uses_dynamic_stack: false
    .vgpr_count:     21
    .vgpr_spill_count: 0
    .wavefront_size: 64
  - .args:
      - .offset:         0
        .size:           4
        .value_kind:     by_value
      - .actual_access:  read_only
        .address_space:  global
        .offset:         8
        .size:           8
        .value_kind:     global_buffer
      - .actual_access:  read_only
        .address_space:  global
        .offset:         16
        .size:           8
        .value_kind:     global_buffer
      - .actual_access:  read_only
        .address_space:  global
        .offset:         24
        .size:           8
        .value_kind:     global_buffer
      - .offset:         32
        .size:           4
        .value_kind:     by_value
      - .offset:         36
        .size:           1
        .value_kind:     by_value
      - .offset:         40
        .size:           4
        .value_kind:     by_value
      - .actual_access:  read_only
        .address_space:  global
        .offset:         48
        .size:           8
        .value_kind:     global_buffer
      - .actual_access:  write_only
        .address_space:  global
        .offset:         56
        .size:           8
        .value_kind:     global_buffer
      - .actual_access:  write_only
        .address_space:  global
        .offset:         64
        .size:           8
        .value_kind:     global_buffer
      - .offset:         72
        .size:           4
        .value_kind:     by_value
      - .offset:         80
        .size:           4
        .value_kind:     hidden_block_count_x
      - .offset:         84
        .size:           4
        .value_kind:     hidden_block_count_y
      - .offset:         88
        .size:           4
        .value_kind:     hidden_block_count_z
      - .offset:         92
        .size:           2
        .value_kind:     hidden_group_size_x
      - .offset:         94
        .size:           2
        .value_kind:     hidden_group_size_y
      - .offset:         96
        .size:           2
        .value_kind:     hidden_group_size_z
      - .offset:         98
        .size:           2
        .value_kind:     hidden_remainder_x
      - .offset:         100
        .size:           2
        .value_kind:     hidden_remainder_y
      - .offset:         102
        .size:           2
        .value_kind:     hidden_remainder_z
      - .offset:         120
        .size:           8
        .value_kind:     hidden_global_offset_x
      - .offset:         128
        .size:           8
        .value_kind:     hidden_global_offset_y
      - .offset:         136
        .size:           8
        .value_kind:     hidden_global_offset_z
      - .offset:         144
        .size:           2
        .value_kind:     hidden_grid_dims
    .group_segment_fixed_size: 0
    .kernarg_segment_align: 8
    .kernarg_segment_size: 336
    .language:       OpenCL C
    .language_version:
      - 2
      - 0
    .max_flat_workgroup_size: 1024
    .name:           _ZN9rocsparseL28internal_extract_fill_kernelILj1024EjiiEEvT2_PKT1_PKS1_PKT0_21rocsparse_index_base_b20rocsparse_diag_type_S4_PS1_PS7_SA_
    .private_segment_fixed_size: 0
    .sgpr_count:     21
    .sgpr_spill_count: 0
    .symbol:         _ZN9rocsparseL28internal_extract_fill_kernelILj1024EjiiEEvT2_PKT1_PKS1_PKT0_21rocsparse_index_base_b20rocsparse_diag_type_S4_PS1_PS7_SA_.kd
    .uniform_work_group_size: 1
    .uses_dynamic_stack: false
    .vgpr_count:     15
    .vgpr_spill_count: 0
    .wavefront_size: 64
  - .args:
      - .offset:         0
        .size:           8
        .value_kind:     by_value
      - .actual_access:  read_only
        .address_space:  global
        .offset:         8
        .size:           8
        .value_kind:     global_buffer
      - .actual_access:  read_only
        .address_space:  global
        .offset:         16
        .size:           8
        .value_kind:     global_buffer
      - .actual_access:  read_only
        .address_space:  global
        .offset:         24
        .size:           8
        .value_kind:     global_buffer
      - .offset:         32
        .size:           4
        .value_kind:     by_value
      - .offset:         36
        .size:           1
        .value_kind:     by_value
      - .offset:         40
        .size:           4
        .value_kind:     by_value
      - .actual_access:  read_only
        .address_space:  global
        .offset:         48
        .size:           8
        .value_kind:     global_buffer
      - .actual_access:  write_only
        .address_space:  global
        .offset:         56
        .size:           8
        .value_kind:     global_buffer
      - .actual_access:  write_only
        .address_space:  global
        .offset:         64
        .size:           8
        .value_kind:     global_buffer
      - .offset:         72
        .size:           4
        .value_kind:     by_value
      - .offset:         80
        .size:           4
        .value_kind:     hidden_block_count_x
      - .offset:         84
        .size:           4
        .value_kind:     hidden_block_count_y
      - .offset:         88
        .size:           4
        .value_kind:     hidden_block_count_z
      - .offset:         92
        .size:           2
        .value_kind:     hidden_group_size_x
      - .offset:         94
        .size:           2
        .value_kind:     hidden_group_size_y
      - .offset:         96
        .size:           2
        .value_kind:     hidden_group_size_z
      - .offset:         98
        .size:           2
        .value_kind:     hidden_remainder_x
      - .offset:         100
        .size:           2
        .value_kind:     hidden_remainder_y
      - .offset:         102
        .size:           2
        .value_kind:     hidden_remainder_z
      - .offset:         120
        .size:           8
        .value_kind:     hidden_global_offset_x
      - .offset:         128
        .size:           8
        .value_kind:     hidden_global_offset_y
      - .offset:         136
        .size:           8
        .value_kind:     hidden_global_offset_z
      - .offset:         144
        .size:           2
        .value_kind:     hidden_grid_dims
    .group_segment_fixed_size: 0
    .kernarg_segment_align: 8
    .kernarg_segment_size: 336
    .language:       OpenCL C
    .language_version:
      - 2
      - 0
    .max_flat_workgroup_size: 1024
    .name:           _ZN9rocsparseL28internal_extract_fill_kernelILj1024EjilEEvT2_PKT1_PKS1_PKT0_21rocsparse_index_base_b20rocsparse_diag_type_S4_PS1_PS7_SA_
    .private_segment_fixed_size: 0
    .sgpr_count:     23
    .sgpr_spill_count: 0
    .symbol:         _ZN9rocsparseL28internal_extract_fill_kernelILj1024EjilEEvT2_PKT1_PKS1_PKT0_21rocsparse_index_base_b20rocsparse_diag_type_S4_PS1_PS7_SA_.kd
    .uniform_work_group_size: 1
    .uses_dynamic_stack: false
    .vgpr_count:     18
    .vgpr_spill_count: 0
    .wavefront_size: 64
  - .args:
      - .offset:         0
        .size:           4
        .value_kind:     by_value
      - .actual_access:  read_only
        .address_space:  global
        .offset:         8
        .size:           8
        .value_kind:     global_buffer
      - .actual_access:  read_only
        .address_space:  global
        .offset:         16
        .size:           8
        .value_kind:     global_buffer
      - .actual_access:  read_only
        .address_space:  global
        .offset:         24
        .size:           8
        .value_kind:     global_buffer
      - .offset:         32
        .size:           4
        .value_kind:     by_value
      - .offset:         36
        .size:           1
        .value_kind:     by_value
      - .offset:         40
        .size:           4
        .value_kind:     by_value
      - .actual_access:  read_only
        .address_space:  global
        .offset:         48
        .size:           8
        .value_kind:     global_buffer
      - .actual_access:  write_only
        .address_space:  global
        .offset:         56
        .size:           8
        .value_kind:     global_buffer
      - .actual_access:  write_only
        .address_space:  global
        .offset:         64
        .size:           8
        .value_kind:     global_buffer
      - .offset:         72
        .size:           4
        .value_kind:     by_value
      - .offset:         80
        .size:           4
        .value_kind:     hidden_block_count_x
      - .offset:         84
        .size:           4
        .value_kind:     hidden_block_count_y
      - .offset:         88
        .size:           4
        .value_kind:     hidden_block_count_z
      - .offset:         92
        .size:           2
        .value_kind:     hidden_group_size_x
      - .offset:         94
        .size:           2
        .value_kind:     hidden_group_size_y
      - .offset:         96
        .size:           2
        .value_kind:     hidden_group_size_z
      - .offset:         98
        .size:           2
        .value_kind:     hidden_remainder_x
      - .offset:         100
        .size:           2
        .value_kind:     hidden_remainder_y
      - .offset:         102
        .size:           2
        .value_kind:     hidden_remainder_z
      - .offset:         120
        .size:           8
        .value_kind:     hidden_global_offset_x
      - .offset:         128
        .size:           8
        .value_kind:     hidden_global_offset_y
      - .offset:         136
        .size:           8
        .value_kind:     hidden_global_offset_z
      - .offset:         144
        .size:           2
        .value_kind:     hidden_grid_dims
    .group_segment_fixed_size: 0
    .kernarg_segment_align: 8
    .kernarg_segment_size: 336
    .language:       OpenCL C
    .language_version:
      - 2
      - 0
    .max_flat_workgroup_size: 1024
    .name:           _ZN9rocsparseL28internal_extract_fill_kernelILj1024EjliEEvT2_PKT1_PKS1_PKT0_21rocsparse_index_base_b20rocsparse_diag_type_S4_PS1_PS7_SA_
    .private_segment_fixed_size: 0
    .sgpr_count:     21
    .sgpr_spill_count: 0
    .symbol:         _ZN9rocsparseL28internal_extract_fill_kernelILj1024EjliEEvT2_PKT1_PKS1_PKT0_21rocsparse_index_base_b20rocsparse_diag_type_S4_PS1_PS7_SA_.kd
    .uniform_work_group_size: 1
    .uses_dynamic_stack: false
    .vgpr_count:     18
    .vgpr_spill_count: 0
    .wavefront_size: 64
  - .args:
      - .offset:         0
        .size:           8
        .value_kind:     by_value
      - .actual_access:  read_only
        .address_space:  global
        .offset:         8
        .size:           8
        .value_kind:     global_buffer
      - .actual_access:  read_only
        .address_space:  global
        .offset:         16
        .size:           8
        .value_kind:     global_buffer
      - .actual_access:  read_only
        .address_space:  global
        .offset:         24
        .size:           8
        .value_kind:     global_buffer
      - .offset:         32
        .size:           4
        .value_kind:     by_value
      - .offset:         36
        .size:           1
        .value_kind:     by_value
      - .offset:         40
        .size:           4
        .value_kind:     by_value
      - .actual_access:  read_only
        .address_space:  global
        .offset:         48
        .size:           8
        .value_kind:     global_buffer
      - .actual_access:  write_only
        .address_space:  global
        .offset:         56
        .size:           8
        .value_kind:     global_buffer
      - .actual_access:  write_only
        .address_space:  global
        .offset:         64
        .size:           8
        .value_kind:     global_buffer
      - .offset:         72
        .size:           4
        .value_kind:     by_value
      - .offset:         80
        .size:           4
        .value_kind:     hidden_block_count_x
      - .offset:         84
        .size:           4
        .value_kind:     hidden_block_count_y
      - .offset:         88
        .size:           4
        .value_kind:     hidden_block_count_z
      - .offset:         92
        .size:           2
        .value_kind:     hidden_group_size_x
      - .offset:         94
        .size:           2
        .value_kind:     hidden_group_size_y
      - .offset:         96
        .size:           2
        .value_kind:     hidden_group_size_z
      - .offset:         98
        .size:           2
        .value_kind:     hidden_remainder_x
      - .offset:         100
        .size:           2
        .value_kind:     hidden_remainder_y
      - .offset:         102
        .size:           2
        .value_kind:     hidden_remainder_z
      - .offset:         120
        .size:           8
        .value_kind:     hidden_global_offset_x
      - .offset:         128
        .size:           8
        .value_kind:     hidden_global_offset_y
      - .offset:         136
        .size:           8
        .value_kind:     hidden_global_offset_z
      - .offset:         144
        .size:           2
        .value_kind:     hidden_grid_dims
    .group_segment_fixed_size: 0
    .kernarg_segment_align: 8
    .kernarg_segment_size: 336
    .language:       OpenCL C
    .language_version:
      - 2
      - 0
    .max_flat_workgroup_size: 1024
    .name:           _ZN9rocsparseL28internal_extract_fill_kernelILj1024EjllEEvT2_PKT1_PKS1_PKT0_21rocsparse_index_base_b20rocsparse_diag_type_S4_PS1_PS7_SA_
    .private_segment_fixed_size: 0
    .sgpr_count:     23
    .sgpr_spill_count: 0
    .symbol:         _ZN9rocsparseL28internal_extract_fill_kernelILj1024EjllEEvT2_PKT1_PKS1_PKT0_21rocsparse_index_base_b20rocsparse_diag_type_S4_PS1_PS7_SA_.kd
    .uniform_work_group_size: 1
    .uses_dynamic_stack: false
    .vgpr_count:     21
    .vgpr_spill_count: 0
    .wavefront_size: 64
amdhsa.target:   amdgcn-amd-amdhsa--gfx906
amdhsa.version:
  - 1
  - 2
...

	.end_amdgpu_metadata
